;; amdgpu-corpus repo=ROCm/rocFFT kind=compiled arch=gfx1030 opt=O3
	.text
	.amdgcn_target "amdgcn-amd-amdhsa--gfx1030"
	.amdhsa_code_object_version 6
	.protected	bluestein_single_fwd_len1584_dim1_dp_op_CI_CI ; -- Begin function bluestein_single_fwd_len1584_dim1_dp_op_CI_CI
	.globl	bluestein_single_fwd_len1584_dim1_dp_op_CI_CI
	.p2align	8
	.type	bluestein_single_fwd_len1584_dim1_dp_op_CI_CI,@function
bluestein_single_fwd_len1584_dim1_dp_op_CI_CI: ; @bluestein_single_fwd_len1584_dim1_dp_op_CI_CI
; %bb.0:
	s_load_dwordx4 s[8:11], s[4:5], 0x28
	v_mul_u32_u24_e32 v1, 0x175, v0
	s_mov_b64 s[46:47], s[2:3]
	s_mov_b64 s[44:45], s[0:1]
	v_mov_b32_e32 v16, 0
	s_add_u32 s44, s44, s7
	v_lshrrev_b32_e32 v1, 16, v1
	s_addc_u32 s45, s45, 0
	s_mov_b32 s0, exec_lo
	v_add_nc_u32_e32 v15, s6, v1
	s_waitcnt lgkmcnt(0)
	v_cmpx_gt_u64_e64 s[8:9], v[15:16]
	s_cbranch_execz .LBB0_39
; %bb.1:
	s_clause 0x1
	s_load_dwordx4 s[0:3], s[4:5], 0x18
	s_load_dwordx2 s[6:7], s[4:5], 0x0
	v_mul_lo_u16 v1, 0xb0, v1
	v_sub_nc_u16 v98, v0, v1
	v_and_b32_e32 v220, 0xffff, v98
	v_lshlrev_b32_e32 v217, 4, v220
	s_waitcnt lgkmcnt(0)
	s_load_dwordx4 s[12:15], s[0:1], 0x0
	v_add_co_u32 v218, s0, s6, v217
	v_add_co_ci_u32_e64 v219, null, s7, 0, s0
	global_load_dwordx4 v[0:3], v217, s[6:7]
	v_add_co_u32 v4, vcc_lo, 0x1800, v218
	v_add_co_ci_u32_e32 v5, vcc_lo, 0, v219, vcc_lo
	v_add_co_u32 v6, vcc_lo, 0x3000, v218
	v_add_co_ci_u32_e32 v7, vcc_lo, 0, v219, vcc_lo
	global_load_dwordx4 v[8:11], v[4:5], off offset:192
	v_mov_b32_e32 v5, v15
	v_add_co_u32 v12, vcc_lo, 0x4800, v218
	buffer_store_dword v5, off, s[44:47], 0 ; 4-byte Folded Spill
	buffer_store_dword v6, off, s[44:47], 0 offset:4 ; 4-byte Folded Spill
	s_waitcnt lgkmcnt(0)
	v_mad_u64_u32 v[24:25], null, s14, v15, 0
	v_mad_u64_u32 v[28:29], null, s12, v220, 0
	v_add_co_ci_u32_e32 v13, vcc_lo, 0, v219, vcc_lo
	v_add_co_u32 v16, vcc_lo, 0x800, v218
	v_mov_b32_e32 v14, v25
	v_add_co_ci_u32_e32 v17, vcc_lo, 0, v219, vcc_lo
	v_mov_b32_e32 v4, v29
	v_add_co_u32 v26, vcc_lo, 0x2000, v218
	v_mad_u64_u32 v[32:33], null, s15, v15, v[14:15]
	v_add_co_ci_u32_e32 v27, vcc_lo, 0, v219, vcc_lo
	v_add_co_u32 v30, vcc_lo, 0x3800, v218
	v_add_co_ci_u32_e32 v31, vcc_lo, 0, v219, vcc_lo
	v_mov_b32_e32 v25, v32
	v_add_co_u32 v62, vcc_lo, 0x5000, v218
	v_add_co_ci_u32_e32 v63, vcc_lo, 0, v219, vcc_lo
	v_lshlrev_b64 v[24:25], 4, v[24:25]
	s_mul_i32 s1, s13, 0x18c
	s_mul_hi_u32 s7, s12, 0x18c
	s_mul_i32 s0, s12, 0x18c
	s_mul_hi_u32 s9, s12, 0xfffffc0c
	s_add_i32 s1, s7, s1
	v_add_co_u32 v24, vcc_lo, s10, v24
	v_add_co_ci_u32_e32 v25, vcc_lo, s11, v25, vcc_lo
	s_mul_i32 s8, s13, 0xfffffc0c
	s_mul_i32 s6, s12, 0xfffffc0c
	s_sub_i32 s7, s9, s12
	s_clause 0x1
	global_load_dwordx4 v[20:23], v[6:7], off offset:384
	global_load_dwordx4 v[12:15], v[12:13], off offset:576
	v_mad_u64_u32 v[33:34], null, s13, v220, v[4:5]
	s_clause 0x1
	global_load_dwordx4 v[16:19], v[16:17], off offset:768
	global_load_dwordx4 v[4:7], v[26:27], off offset:960
	s_lshl_b64 s[12:13], s[0:1], 4
	s_add_i32 s7, s7, s8
	s_lshl_b64 s[0:1], s[6:7], 4
	v_mov_b32_e32 v29, v33
	v_lshlrev_b64 v[26:27], 4, v[28:29]
	v_add_co_u32 v24, vcc_lo, v24, v26
	v_add_co_ci_u32_e32 v25, vcc_lo, v25, v27, vcc_lo
	v_add_co_u32 v26, vcc_lo, v24, s12
	v_add_co_ci_u32_e32 v27, vcc_lo, s13, v25, vcc_lo
	s_clause 0x1
	global_load_dwordx4 v[34:37], v[24:25], off
	global_load_dwordx4 v[38:41], v[26:27], off
	v_add_co_u32 v28, vcc_lo, v26, s12
	v_add_co_ci_u32_e32 v29, vcc_lo, s13, v27, vcc_lo
	v_add_co_u32 v32, vcc_lo, v28, s12
	v_add_co_ci_u32_e32 v33, vcc_lo, s13, v29, vcc_lo
	global_load_dwordx4 v[42:45], v[28:29], off
	v_add_co_u32 v24, vcc_lo, v32, s0
	v_add_co_ci_u32_e32 v25, vcc_lo, s1, v33, vcc_lo
	global_load_dwordx4 v[46:49], v[32:33], off
	v_add_co_u32 v26, vcc_lo, v24, s12
	global_load_dwordx4 v[50:53], v[24:25], off
	v_add_co_ci_u32_e32 v27, vcc_lo, s13, v25, vcc_lo
	v_add_co_u32 v28, vcc_lo, v26, s12
	v_add_co_ci_u32_e32 v29, vcc_lo, s13, v27, vcc_lo
	v_add_co_u32 v32, vcc_lo, v28, s12
	v_add_co_ci_u32_e32 v33, vcc_lo, s13, v29, vcc_lo
	global_load_dwordx4 v[54:57], v[26:27], off
	global_load_dwordx4 v[58:61], v[28:29], off
	s_clause 0x1
	global_load_dwordx4 v[24:27], v[30:31], off offset:1152
	global_load_dwordx4 v[28:31], v[62:63], off offset:1344
	global_load_dwordx4 v[62:65], v[32:33], off
	v_cmp_gt_u16_e32 vcc_lo, 44, v98
	s_waitcnt vmcnt(9)
	v_mul_f64 v[66:67], v[36:37], v[2:3]
	s_waitcnt vmcnt(8)
	v_mul_f64 v[70:71], v[40:41], v[10:11]
	v_mul_f64 v[68:69], v[34:35], v[2:3]
	;; [unrolled: 1-line block ×3, first 2 shown]
	s_waitcnt vmcnt(7)
	v_mul_f64 v[74:75], v[44:45], v[22:23]
	v_mul_f64 v[76:77], v[42:43], v[22:23]
	s_waitcnt vmcnt(6)
	v_mul_f64 v[78:79], v[48:49], v[14:15]
	v_mul_f64 v[80:81], v[46:47], v[14:15]
	;; [unrolled: 3-line block ×3, first 2 shown]
	v_fma_f64 v[34:35], v[34:35], v[0:1], v[66:67]
	buffer_store_dword v0, off, s[44:47], 0 offset:8 ; 4-byte Folded Spill
	buffer_store_dword v1, off, s[44:47], 0 offset:12 ; 4-byte Folded Spill
	;; [unrolled: 1-line block ×4, first 2 shown]
	v_fma_f64 v[38:39], v[38:39], v[8:9], v[70:71]
	buffer_store_dword v8, off, s[44:47], 0 offset:40 ; 4-byte Folded Spill
	buffer_store_dword v9, off, s[44:47], 0 offset:44 ; 4-byte Folded Spill
	;; [unrolled: 1-line block ×4, first 2 shown]
	s_waitcnt vmcnt(4)
	v_mul_f64 v[86:87], v[56:57], v[6:7]
	v_mul_f64 v[88:89], v[54:55], v[6:7]
	s_waitcnt vmcnt(2)
	v_mul_f64 v[90:91], v[60:61], v[26:27]
	v_mul_f64 v[92:93], v[58:59], v[26:27]
	;; [unrolled: 3-line block ×3, first 2 shown]
	v_fma_f64 v[42:43], v[42:43], v[20:21], v[74:75]
	v_fma_f64 v[44:45], v[44:45], v[20:21], -v[76:77]
	v_fma_f64 v[46:47], v[46:47], v[12:13], v[78:79]
	v_fma_f64 v[48:49], v[48:49], v[12:13], -v[80:81]
	;; [unrolled: 2-line block ×3, first 2 shown]
	v_fma_f64 v[54:55], v[54:55], v[4:5], v[86:87]
	buffer_store_dword v4, off, s[44:47], 0 offset:24 ; 4-byte Folded Spill
	buffer_store_dword v5, off, s[44:47], 0 offset:28 ; 4-byte Folded Spill
	;; [unrolled: 1-line block ×4, first 2 shown]
	v_fma_f64 v[58:59], v[58:59], v[24:25], v[90:91]
	v_fma_f64 v[60:61], v[60:61], v[24:25], -v[92:93]
	s_load_dwordx2 s[6:7], s[4:5], 0x38
	s_load_dwordx4 s[8:11], s[2:3], 0x0
	v_fma_f64 v[62:63], v[62:63], v[28:29], v[94:95]
	v_fma_f64 v[64:65], v[64:65], v[28:29], -v[96:97]
	v_fma_f64 v[36:37], v[36:37], v[0:1], -v[68:69]
	;; [unrolled: 1-line block ×3, first 2 shown]
	ds_write_b128 v217, v[34:37]
	ds_write_b128 v217, v[38:41] offset:6336
	ds_write_b128 v217, v[42:45] offset:12672
	;; [unrolled: 1-line block ×3, first 2 shown]
	v_fma_f64 v[56:57], v[56:57], v[4:5], -v[88:89]
	ds_write_b128 v217, v[50:53] offset:2816
	ds_write_b128 v217, v[54:57] offset:9152
	;; [unrolled: 1-line block ×4, first 2 shown]
	s_and_saveexec_b32 s2, vcc_lo
	s_cbranch_execz .LBB0_3
; %bb.2:
	v_add_co_u32 v32, s0, v32, s0
	v_add_co_ci_u32_e64 v33, s0, s1, v33, s0
	v_add_co_u32 v36, s0, 0x1000, v218
	v_add_co_ci_u32_e64 v37, s0, 0, v219, s0
	;; [unrolled: 2-line block ×7, first 2 shown]
	v_add_co_u32 v60, s0, v48, s12
	global_load_dwordx4 v[32:35], v[32:33], off
	global_load_dwordx4 v[36:39], v[36:37], off offset:1536
	global_load_dwordx4 v[40:43], v[44:45], off
	v_add_co_ci_u32_e64 v61, s0, s13, v49, s0
	global_load_dwordx4 v[44:47], v[46:47], off offset:1728
	global_load_dwordx4 v[48:51], v[48:49], off
	s_clause 0x1
	global_load_dwordx4 v[52:55], v[52:53], off offset:1920
	global_load_dwordx4 v[56:59], v[56:57], off offset:64
	global_load_dwordx4 v[60:63], v[60:61], off
	s_waitcnt vmcnt(6)
	v_mul_f64 v[64:65], v[34:35], v[38:39]
	v_mul_f64 v[38:39], v[32:33], v[38:39]
	s_waitcnt vmcnt(4)
	v_mul_f64 v[66:67], v[42:43], v[46:47]
	v_mul_f64 v[46:47], v[40:41], v[46:47]
	;; [unrolled: 3-line block ×4, first 2 shown]
	v_fma_f64 v[32:33], v[32:33], v[36:37], v[64:65]
	v_fma_f64 v[34:35], v[34:35], v[36:37], -v[38:39]
	v_fma_f64 v[36:37], v[40:41], v[44:45], v[66:67]
	v_fma_f64 v[38:39], v[42:43], v[44:45], -v[46:47]
	;; [unrolled: 2-line block ×4, first 2 shown]
	ds_write_b128 v217, v[32:35] offset:5632
	ds_write_b128 v217, v[36:39] offset:11968
	;; [unrolled: 1-line block ×4, first 2 shown]
.LBB0_3:
	s_or_b32 exec_lo, exec_lo, s2
	s_waitcnt lgkmcnt(0)
	s_waitcnt_vscnt null, 0x0
	s_barrier
	buffer_gl0_inv
	ds_read_b128 v[32:35], v217
	ds_read_b128 v[36:39], v217 offset:2816
	ds_read_b128 v[44:47], v217 offset:6336
	;; [unrolled: 1-line block ×7, first 2 shown]
                                        ; implicit-def: $vgpr48_vgpr49
                                        ; implicit-def: $vgpr68_vgpr69
                                        ; implicit-def: $vgpr60_vgpr61
                                        ; implicit-def: $vgpr52_vgpr53
	s_and_saveexec_b32 s0, vcc_lo
	s_cbranch_execz .LBB0_5
; %bb.4:
	ds_read_b128 v[48:51], v217 offset:5632
	ds_read_b128 v[52:55], v217 offset:11968
	;; [unrolled: 1-line block ×4, first 2 shown]
.LBB0_5:
	s_or_b32 exec_lo, exec_lo, s0
	s_waitcnt lgkmcnt(3)
	v_add_f64 v[76:77], v[32:33], -v[76:77]
	v_add_f64 v[78:79], v[34:35], -v[78:79]
	s_waitcnt lgkmcnt(1)
	v_add_f64 v[72:73], v[44:45], -v[72:73]
	v_add_f64 v[74:75], v[46:47], -v[74:75]
	;; [unrolled: 1-line block ×4, first 2 shown]
	s_waitcnt lgkmcnt(0)
	v_add_f64 v[60:61], v[52:53], -v[68:69]
	v_add_f64 v[62:63], v[54:55], -v[70:71]
	v_add_f64 v[64:65], v[36:37], -v[64:65]
	v_add_f64 v[66:67], v[38:39], -v[66:67]
	v_add_f64 v[56:57], v[40:41], -v[56:57]
	v_add_f64 v[58:59], v[42:43], -v[58:59]
	s_load_dwordx2 s[4:5], s[4:5], 0x8
	v_add_co_u32 v237, null, 0x160, v220
	s_waitcnt lgkmcnt(0)
	s_barrier
	buffer_gl0_inv
	v_lshlrev_b32_e32 v239, 6, v237
	v_fma_f64 v[32:33], v[32:33], 2.0, -v[76:77]
	v_fma_f64 v[34:35], v[34:35], 2.0, -v[78:79]
	;; [unrolled: 1-line block ×12, first 2 shown]
	v_add_f64 v[52:53], v[80:81], -v[62:63]
	v_add_f64 v[54:55], v[82:83], v[60:61]
	v_add_f64 v[36:37], v[76:77], -v[74:75]
	v_add_f64 v[38:39], v[78:79], v[72:73]
	;; [unrolled: 2-line block ×3, first 2 shown]
	v_add_f64 v[48:49], v[32:33], -v[68:69]
	v_add_f64 v[50:51], v[34:35], -v[70:71]
	;; [unrolled: 1-line block ×6, first 2 shown]
	v_fma_f64 v[40:41], v[80:81], 2.0, -v[52:53]
	v_fma_f64 v[42:43], v[82:83], 2.0, -v[54:55]
	v_fma_f64 v[60:61], v[76:77], 2.0, -v[36:37]
	v_fma_f64 v[62:63], v[78:79], 2.0, -v[38:39]
	v_fma_f64 v[64:65], v[64:65], 2.0, -v[44:45]
	v_fma_f64 v[66:67], v[66:67], 2.0, -v[46:47]
	v_lshlrev_b16 v76, 2, v220
	v_mov_b32_e32 v77, 4
	v_add_co_u32 v80, null, 0xb0, v220
	v_fma_f64 v[68:69], v[32:33], 2.0, -v[48:49]
	v_fma_f64 v[70:71], v[34:35], 2.0, -v[50:51]
	v_lshlrev_b32_sdwa v228, v77, v76 dst_sel:DWORD dst_unused:UNUSED_PAD src0_sel:DWORD src1_sel:WORD_0
	v_lshlrev_b32_e32 v1, 6, v80
	v_fma_f64 v[32:33], v[92:93], 2.0, -v[88:89]
	v_fma_f64 v[34:35], v[94:95], 2.0, -v[90:91]
	;; [unrolled: 1-line block ×4, first 2 shown]
	ds_write_b128 v228, v[36:39] offset:48
	ds_write_b128 v228, v[60:63] offset:16
	ds_write_b128 v228, v[48:51] offset:32
	ds_write_b128 v1, v[64:67] offset:16
	ds_write_b128 v1, v[56:59] offset:32
	ds_write_b128 v228, v[68:71]
	ds_write_b128 v1, v[72:75]
	ds_write_b128 v1, v[44:47] offset:48
	s_and_saveexec_b32 s0, vcc_lo
	s_cbranch_execz .LBB0_7
; %bb.6:
	ds_write_b128 v239, v[32:35]
	ds_write_b128 v239, v[40:43] offset:16
	ds_write_b128 v239, v[88:91] offset:32
	;; [unrolled: 1-line block ×3, first 2 shown]
.LBB0_7:
	s_or_b32 exec_lo, exec_lo, s0
	s_waitcnt lgkmcnt(0)
	s_barrier
	buffer_gl0_inv
	ds_read_b128 v[48:51], v217
	ds_read_b128 v[56:59], v217 offset:2816
	ds_read_b128 v[68:71], v217 offset:12672
	;; [unrolled: 1-line block ×7, first 2 shown]
	v_cmp_gt_u16_e64 s0, 0x58, v220
	s_and_saveexec_b32 s1, s0
	s_cbranch_execz .LBB0_9
; %bb.8:
	ds_read_b128 v[32:35], v217 offset:11264
	ds_read_b128 v[40:43], v217 offset:23936
.LBB0_9:
	s_or_b32 exec_lo, exec_lo, s1
	v_and_b32_e32 v168, 3, v220
	v_lshlrev_b32_e32 v11, 1, v220
	v_lshlrev_b32_e32 v10, 1, v80
	;; [unrolled: 1-line block ×4, first 2 shown]
	v_add_nc_u32_e32 v129, 0x420, v11
	v_and_or_b32 v80, 0x1f8, v11, v168
	global_load_dwordx4 v[36:39], v36, s[4:5]
	s_waitcnt vmcnt(0) lgkmcnt(0)
	v_lshlrev_b32_e32 v6, 4, v80
	s_barrier
	buffer_gl0_inv
	v_mul_f64 v[81:82], v[70:71], v[38:39]
	v_mul_f64 v[83:84], v[68:69], v[38:39]
	;; [unrolled: 1-line block ×10, first 2 shown]
	v_fma_f64 v[68:69], v[68:69], v[36:37], -v[81:82]
	v_fma_f64 v[70:71], v[70:71], v[36:37], v[83:84]
	v_fma_f64 v[44:45], v[44:45], v[36:37], -v[85:86]
	v_fma_f64 v[46:47], v[46:47], v[36:37], v[92:93]
	;; [unrolled: 2-line block ×5, first 2 shown]
	v_add_f64 v[40:41], v[48:49], -v[68:69]
	v_add_f64 v[42:43], v[50:51], -v[70:71]
	;; [unrolled: 1-line block ×10, first 2 shown]
	v_add_co_u32 v81, null, 0x2c0, v220
	v_and_or_b32 v82, 0x3f8, v10, v168
	v_and_or_b32 v83, 0x7f8, v128, v168
	v_lshlrev_b32_e32 v238, 1, v81
	v_and_or_b32 v81, 0x7f8, v129, v168
	v_lshlrev_b32_e32 v0, 4, v82
	v_lshlrev_b32_e32 v3, 4, v83
	;; [unrolled: 1-line block ×3, first 2 shown]
	v_fma_f64 v[48:49], v[48:49], 2.0, -v[40:41]
	v_fma_f64 v[50:51], v[50:51], 2.0, -v[42:43]
	;; [unrolled: 1-line block ×10, first 2 shown]
	ds_write_b128 v6, v[40:43] offset:64
	ds_write_b128 v6, v[48:51]
	ds_write_b128 v0, v[56:59]
	ds_write_b128 v0, v[68:71] offset:64
	ds_write_b128 v3, v[60:63]
	ds_write_b128 v3, v[72:75] offset:64
	;; [unrolled: 2-line block ×3, first 2 shown]
	s_and_saveexec_b32 s1, s0
	s_cbranch_execz .LBB0_11
; %bb.10:
	v_and_or_b32 v40, 0x7f8, v238, v168
	v_lshlrev_b32_e32 v40, 4, v40
	ds_write_b128 v40, v[32:35]
	ds_write_b128 v40, v[44:47] offset:64
.LBB0_11:
	s_or_b32 exec_lo, exec_lo, s1
	s_waitcnt lgkmcnt(0)
	s_barrier
	buffer_gl0_inv
	ds_read_b128 v[48:51], v217
	ds_read_b128 v[56:59], v217 offset:2816
	ds_read_b128 v[72:75], v217 offset:12672
	;; [unrolled: 1-line block ×7, first 2 shown]
	s_and_saveexec_b32 s1, s0
	s_cbranch_execz .LBB0_13
; %bb.12:
	ds_read_b128 v[32:35], v217 offset:11264
	ds_read_b128 v[44:47], v217 offset:23936
.LBB0_13:
	s_or_b32 exec_lo, exec_lo, s1
	v_and_b32_e32 v226, 7, v220
	v_lshlrev_b32_e32 v40, 4, v226
	global_load_dwordx4 v[40:43], v40, s[4:5] offset:64
	s_waitcnt vmcnt(0) lgkmcnt(0)
	s_barrier
	buffer_gl0_inv
	v_mul_f64 v[84:85], v[74:75], v[42:43]
	v_mul_f64 v[86:87], v[72:73], v[42:43]
	;; [unrolled: 1-line block ×10, first 2 shown]
	v_fma_f64 v[72:73], v[72:73], v[40:41], -v[84:85]
	v_fma_f64 v[74:75], v[74:75], v[40:41], v[86:87]
	v_fma_f64 v[68:69], v[68:69], v[40:41], -v[92:93]
	v_fma_f64 v[70:71], v[70:71], v[40:41], v[94:95]
	;; [unrolled: 2-line block ×5, first 2 shown]
	v_add_f64 v[112:113], v[48:49], -v[72:73]
	v_add_f64 v[114:115], v[50:51], -v[74:75]
	;; [unrolled: 1-line block ×10, first 2 shown]
	v_fma_f64 v[84:85], v[48:49], 2.0, -v[112:113]
	v_fma_f64 v[86:87], v[50:51], 2.0, -v[114:115]
	;; [unrolled: 1-line block ×10, first 2 shown]
	v_and_or_b32 v32, 0x1f0, v11, v226
	v_and_or_b32 v33, 0x3f0, v10, v226
	;; [unrolled: 1-line block ×4, first 2 shown]
	v_lshlrev_b32_e32 v9, 4, v32
	v_lshlrev_b32_e32 v4, 4, v33
	;; [unrolled: 1-line block ×4, first 2 shown]
	ds_write_b128 v9, v[112:115] offset:128
	ds_write_b128 v9, v[84:87]
	ds_write_b128 v4, v[120:123]
	ds_write_b128 v4, v[108:111] offset:128
	ds_write_b128 v8, v[96:99]
	ds_write_b128 v8, v[92:95] offset:128
	;; [unrolled: 2-line block ×3, first 2 shown]
	s_and_saveexec_b32 s1, s0
	s_cbranch_execz .LBB0_15
; %bb.14:
	v_and_or_b32 v32, 0x7f0, v238, v226
	v_lshlrev_b32_e32 v32, 4, v32
	ds_write_b128 v32, v[116:119]
	ds_write_b128 v32, v[124:127] offset:128
.LBB0_15:
	s_or_b32 exec_lo, exec_lo, s1
	v_cmp_gt_u16_e64 s1, 0x90, v220
	s_waitcnt lgkmcnt(0)
	s_barrier
	buffer_gl0_inv
	s_and_saveexec_b32 s2, s1
	s_cbranch_execz .LBB0_17
; %bb.16:
	ds_read_b128 v[84:87], v217
	ds_read_b128 v[112:115], v217 offset:2304
	ds_read_b128 v[120:123], v217 offset:4608
	;; [unrolled: 1-line block ×10, first 2 shown]
.LBB0_17:
	s_or_b32 exec_lo, exec_lo, s2
	v_and_b32_e32 v32, 15, v220
	s_mov_b32 s2, 0xf8bb580b
	s_mov_b32 s12, 0x8eee2c13
	;; [unrolled: 1-line block ×4, first 2 shown]
	v_mad_u64_u32 v[76:77], null, 0xa0, v32, s[4:5]
	s_mov_b32 s14, 0x8764f0ba
	s_mov_b32 s16, 0xd9c712b6
	;; [unrolled: 1-line block ×6, first 2 shown]
	s_clause 0x9
	global_load_dwordx4 v[32:35], v[76:77], off offset:192
	global_load_dwordx4 v[64:67], v[76:77], off offset:336
	global_load_dwordx4 v[44:47], v[76:77], off offset:208
	global_load_dwordx4 v[48:51], v[76:77], off offset:320
	global_load_dwordx4 v[56:59], v[76:77], off offset:224
	global_load_dwordx4 v[60:63], v[76:77], off offset:304
	global_load_dwordx4 v[68:71], v[76:77], off offset:240
	global_load_dwordx4 v[72:75], v[76:77], off offset:288
	global_load_dwordx4 v[80:83], v[76:77], off offset:256
	global_load_dwordx4 v[76:79], v[76:77], off offset:272
	s_mov_b32 s18, 0x43842ef
	s_mov_b32 s22, 0x7f775887
	;; [unrolled: 1-line block ×16, first 2 shown]
	s_waitcnt vmcnt(0) lgkmcnt(0)
	s_barrier
	buffer_gl0_inv
	v_mul_f64 v[128:129], v[112:113], v[34:35]
	v_mul_f64 v[130:131], v[88:89], v[66:67]
	;; [unrolled: 1-line block ×11, first 2 shown]
	v_fma_f64 v[150:151], v[114:115], v[32:33], v[128:129]
	v_fma_f64 v[90:91], v[90:91], v[64:65], v[130:131]
	v_fma_f64 v[152:153], v[112:113], v[32:33], -v[132:133]
	v_fma_f64 v[88:89], v[88:89], v[64:65], -v[134:135]
	v_mul_f64 v[128:129], v[110:111], v[58:59]
	v_mul_f64 v[130:131], v[108:109], v[58:59]
	v_fma_f64 v[120:121], v[120:121], v[44:45], -v[136:137]
	v_fma_f64 v[122:123], v[122:123], v[44:45], v[138:139]
	v_fma_f64 v[114:115], v[126:127], v[48:49], v[140:141]
	v_fma_f64 v[112:113], v[124:125], v[48:49], -v[142:143]
	v_mul_f64 v[124:125], v[96:97], v[70:71]
	v_mul_f64 v[126:127], v[104:105], v[74:75]
	;; [unrolled: 1-line block ×4, first 2 shown]
	v_fma_f64 v[162:163], v[102:103], v[76:77], v[148:149]
	v_add_f64 v[171:172], v[150:151], -v[90:91]
	v_add_f64 v[207:208], v[150:151], v[90:91]
	v_add_f64 v[175:176], v[152:153], -v[88:89]
	v_fma_f64 v[132:133], v[108:109], v[56:57], -v[128:129]
	v_fma_f64 v[134:135], v[110:111], v[56:57], v[130:131]
	v_fma_f64 v[110:111], v[118:119], v[60:61], v[144:145]
	v_fma_f64 v[108:109], v[116:117], v[60:61], -v[146:147]
	v_add_f64 v[118:119], v[122:123], -v[114:115]
	v_add_f64 v[116:117], v[120:121], -v[112:113]
	v_add_f64 v[205:206], v[152:153], v[88:89]
	v_mul_f64 v[128:129], v[94:95], v[82:83]
	v_mul_f64 v[130:131], v[92:93], v[82:83]
	;; [unrolled: 1-line block ×3, first 2 shown]
	v_fma_f64 v[154:155], v[98:99], v[68:69], v[124:125]
	v_fma_f64 v[142:143], v[106:107], v[72:73], v[126:127]
	v_fma_f64 v[156:157], v[96:97], v[68:69], -v[136:137]
	v_fma_f64 v[144:145], v[104:105], v[72:73], -v[138:139]
	v_add_f64 v[98:99], v[120:121], v[112:113]
	v_add_f64 v[140:141], v[122:123], v[114:115]
	v_mul_f64 v[209:210], v[171:172], s[2:3]
	v_mul_f64 v[213:214], v[171:172], s[12:13]
	;; [unrolled: 1-line block ×4, first 2 shown]
	v_add_f64 v[104:105], v[134:135], -v[110:111]
	v_add_f64 v[96:97], v[132:133], -v[108:109]
	v_mul_f64 v[183:184], v[118:119], s[12:13]
	v_mul_f64 v[185:186], v[116:117], s[12:13]
	;; [unrolled: 1-line block ×4, first 2 shown]
	v_fma_f64 v[164:165], v[92:93], v[80:81], -v[128:129]
	v_fma_f64 v[166:167], v[94:95], v[80:81], v[130:131]
	v_fma_f64 v[160:161], v[100:101], v[76:77], -v[146:147]
	v_add_f64 v[92:93], v[132:133], v[108:109]
	v_add_f64 v[148:149], v[134:135], v[110:111]
	v_add_f64 v[138:139], v[154:155], -v[142:143]
	v_add_f64 v[94:95], v[156:157], -v[144:145]
	v_add_f64 v[158:159], v[154:155], v[142:143]
	v_fma_f64 v[106:107], v[205:206], s[14:15], v[209:210]
	v_fma_f64 v[126:127], v[205:206], s[16:17], v[213:214]
	v_fma_f64 v[124:125], v[207:208], s[14:15], -v[211:212]
	v_fma_f64 v[136:137], v[207:208], s[16:17], -v[215:216]
	v_mul_f64 v[191:192], v[104:105], s[18:19]
	v_mul_f64 v[193:194], v[96:97], s[18:19]
	v_mul_f64 v[179:180], v[104:105], s[24:25]
	v_mul_f64 v[181:182], v[96:97], s[24:25]
	v_fma_f64 v[128:129], v[98:99], s[16:17], v[183:184]
	v_fma_f64 v[130:131], v[140:141], s[16:17], -v[185:186]
	v_fma_f64 v[146:147], v[98:99], s[22:23], v[169:170]
	v_fma_f64 v[177:178], v[140:141], s[22:23], -v[173:174]
	v_add_f64 v[100:101], v[166:167], -v[162:163]
	v_add_f64 v[102:103], v[164:165], -v[160:161]
	v_mul_f64 v[197:198], v[138:139], s[20:21]
	v_mul_f64 v[199:200], v[94:95], s[20:21]
	;; [unrolled: 1-line block ×4, first 2 shown]
	v_add_f64 v[195:196], v[84:85], v[106:107]
	v_add_f64 v[126:127], v[84:85], v[126:127]
	;; [unrolled: 1-line block ×5, first 2 shown]
	v_fma_f64 v[240:241], v[92:93], s[28:29], v[191:192]
	v_fma_f64 v[242:243], v[148:149], s[28:29], -v[193:194]
	v_fma_f64 v[244:245], v[92:93], s[26:27], v[179:180]
	v_fma_f64 v[246:247], v[148:149], s[26:27], -v[181:182]
	v_mul_f64 v[201:202], v[100:101], s[34:35]
	v_mul_f64 v[203:204], v[102:103], s[34:35]
	v_fma_f64 v[250:251], v[158:159], s[22:23], -v[199:200]
	v_fma_f64 v[254:255], v[158:159], s[28:29], -v[189:190]
	v_add_f64 v[128:129], v[128:129], v[195:196]
	v_add_f64 v[126:127], v[146:147], v[126:127]
	;; [unrolled: 1-line block ×6, first 2 shown]
	v_mul_f64 v[177:178], v[100:101], s[30:31]
	v_mul_f64 v[195:196], v[102:103], s[30:31]
	v_fma_f64 v[248:249], v[106:107], s[22:23], v[197:198]
	v_fma_f64 v[252:253], v[106:107], s[28:29], v[187:188]
	v_add_f64 v[128:129], v[240:241], v[128:129]
	v_add_f64 v[126:127], v[244:245], v[126:127]
	v_add_f64 v[124:125], v[242:243], v[124:125]
	v_add_f64 v[130:131], v[246:247], v[130:131]
	v_fma_f64 v[240:241], v[136:137], s[26:27], v[201:202]
	v_fma_f64 v[242:243], v[146:147], s[26:27], -v[203:204]
	v_fma_f64 v[244:245], v[136:137], s[14:15], v[177:178]
	v_fma_f64 v[246:247], v[146:147], s[14:15], -v[195:196]
	v_add_f64 v[128:129], v[248:249], v[128:129]
	v_add_f64 v[126:127], v[252:253], v[126:127]
	;; [unrolled: 1-line block ×8, first 2 shown]
	v_lshrrev_b32_e32 v245, 4, v220
	s_and_saveexec_b32 s33, s1
	s_cbranch_execz .LBB0_19
; %bb.18:
	v_mul_f64 v[240:241], v[207:208], s[16:17]
	v_mul_f64 v[242:243], v[207:208], s[22:23]
	s_mov_b32 s39, 0x3fe82f19
	s_mov_b32 s38, s20
	v_mov_b32_e32 v227, v168
	v_mov_b32_e32 v168, v245
	v_mul_f64 v[250:251], v[171:172], s[20:21]
	v_add_f64 v[229:230], v[84:85], v[152:153]
	s_mov_b32 s41, 0x3fed1bb4
	s_mov_b32 s40, s12
	v_mul_f64 v[223:224], v[146:147], s[28:29]
	v_mov_b32_e32 v7, v6
	v_mov_b32_e32 v6, v5
	;; [unrolled: 1-line block ×10, first 2 shown]
	v_mul_f64 v[225:226], v[100:101], s[18:19]
	v_add_f64 v[215:216], v[215:216], v[240:241]
	v_mul_f64 v[240:241], v[207:208], s[14:15]
	v_fma_f64 v[246:247], v[175:176], s[38:39], v[242:243]
	v_fma_f64 v[242:243], v[175:176], s[20:21], v[242:243]
	;; [unrolled: 1-line block ×3, first 2 shown]
	v_fma_f64 v[250:251], v[205:206], s[22:23], -v[250:251]
	v_add_f64 v[120:121], v[229:230], v[120:121]
	v_add_f64 v[215:216], v[86:87], v[215:216]
	;; [unrolled: 1-line block ×3, first 2 shown]
	v_mul_f64 v[240:241], v[205:206], s[14:15]
	v_add_f64 v[242:243], v[86:87], v[242:243]
	v_add_f64 v[250:251], v[84:85], v[250:251]
	v_add_f64 v[120:121], v[120:121], v[132:133]
	v_mul_f64 v[132:133], v[140:141], s[26:27]
	v_add_f64 v[211:212], v[86:87], v[211:212]
	v_add_f64 v[209:210], v[240:241], -v[209:210]
	v_mul_f64 v[240:241], v[205:206], s[16:17]
	v_add_f64 v[120:121], v[120:121], v[156:157]
	v_add_f64 v[209:210], v[84:85], v[209:210]
	v_add_f64 v[213:214], v[240:241], -v[213:214]
	v_mul_f64 v[240:241], v[207:208], s[26:27]
	v_mul_f64 v[207:208], v[207:208], s[28:29]
	v_add_f64 v[120:121], v[120:121], v[164:165]
	v_mul_f64 v[164:165], v[148:149], s[16:17]
	v_add_f64 v[213:214], v[84:85], v[213:214]
	v_fma_f64 v[244:245], v[175:176], s[24:25], v[240:241]
	v_fma_f64 v[240:241], v[175:176], s[34:35], v[240:241]
	;; [unrolled: 1-line block ×4, first 2 shown]
	v_mul_f64 v[207:208], v[171:172], s[34:35]
	v_mul_f64 v[171:172], v[171:172], s[18:19]
	v_add_f64 v[120:121], v[120:121], v[160:161]
	v_mul_f64 v[160:161], v[104:105], s[40:41]
	v_add_f64 v[240:241], v[86:87], v[240:241]
	v_add_f64 v[248:249], v[86:87], v[248:249]
	;; [unrolled: 1-line block ×3, first 2 shown]
	v_fma_f64 v[252:253], v[205:206], s[26:27], v[207:208]
	v_fma_f64 v[207:208], v[205:206], s[26:27], -v[207:208]
	v_fma_f64 v[221:222], v[205:206], s[28:29], -v[171:172]
	v_fma_f64 v[171:172], v[205:206], s[28:29], v[171:172]
	v_add_f64 v[205:206], v[86:87], v[150:151]
	v_add_f64 v[150:151], v[86:87], v[244:245]
	;; [unrolled: 1-line block ×6, first 2 shown]
	v_mul_f64 v[252:253], v[140:141], s[14:15]
	v_add_f64 v[207:208], v[84:85], v[207:208]
	v_add_f64 v[221:222], v[84:85], v[221:222]
	;; [unrolled: 1-line block ×5, first 2 shown]
	v_mul_f64 v[120:121], v[140:141], s[28:29]
	v_fma_f64 v[84:85], v[116:117], s[2:3], v[252:253]
	v_add_f64 v[122:123], v[122:123], v[134:135]
	v_fma_f64 v[134:135], v[116:117], s[24:25], v[132:133]
	v_add_f64 v[108:109], v[108:109], v[112:113]
	v_add_f64 v[84:85], v[84:85], v[150:151]
	v_mul_f64 v[150:151], v[118:119], s[30:31]
	v_add_f64 v[122:123], v[122:123], v[154:155]
	v_add_f64 v[134:135], v[134:135], v[248:249]
	v_mul_f64 v[154:155], v[118:119], s[24:25]
	v_mul_f64 v[118:119], v[118:119], s[36:37]
	v_add_f64 v[88:89], v[108:109], v[88:89]
	v_fma_f64 v[86:87], v[98:99], s[14:15], v[150:151]
	v_fma_f64 v[150:151], v[98:99], s[14:15], -v[150:151]
	v_add_f64 v[122:123], v[122:123], v[166:167]
	v_fma_f64 v[166:167], v[96:97], s[40:41], v[164:165]
	v_fma_f64 v[156:157], v[98:99], s[26:27], -v[154:155]
	v_add_f64 v[86:87], v[86:87], v[152:153]
	v_mul_f64 v[152:153], v[148:149], s[22:23]
	v_add_f64 v[150:151], v[150:151], v[207:208]
	v_add_f64 v[122:123], v[122:123], v[162:163]
	;; [unrolled: 1-line block ×4, first 2 shown]
	v_fma_f64 v[162:163], v[92:93], s[16:17], -v[160:161]
	v_fma_f64 v[254:255], v[96:97], s[38:39], v[152:153]
	v_fma_f64 v[152:153], v[96:97], s[20:21], v[152:153]
	v_add_f64 v[122:123], v[122:123], v[142:143]
	v_mul_f64 v[142:143], v[158:159], s[14:15]
	v_add_f64 v[156:157], v[162:163], v[156:157]
	v_add_f64 v[84:85], v[254:255], v[84:85]
	v_mul_f64 v[254:255], v[104:105], s[20:21]
	v_add_f64 v[110:111], v[122:123], v[110:111]
	v_fma_f64 v[144:145], v[94:95], s[2:3], v[142:143]
	v_fma_f64 v[122:123], v[116:117], s[36:37], v[120:121]
	v_mul_f64 v[104:105], v[104:105], s[2:3]
	v_fma_f64 v[120:121], v[116:117], s[18:19], v[120:121]
	v_fma_f64 v[231:232], v[92:93], s[22:23], v[254:255]
	v_fma_f64 v[207:208], v[92:93], s[22:23], -v[254:255]
	v_add_f64 v[134:135], v[144:145], v[134:135]
	v_mul_f64 v[144:145], v[148:149], s[14:15]
	v_add_f64 v[122:123], v[122:123], v[242:243]
	v_add_f64 v[110:111], v[110:111], v[114:115]
	v_fma_f64 v[112:113], v[92:93], s[14:15], -v[104:105]
	v_mul_f64 v[114:115], v[158:159], s[26:27]
	v_fma_f64 v[104:105], v[92:93], s[14:15], v[104:105]
	v_add_f64 v[120:121], v[120:121], v[244:245]
	v_mov_b32_e32 v245, v168
	v_mov_b32_e32 v168, v227
	v_add_f64 v[86:87], v[231:232], v[86:87]
	v_mul_f64 v[231:232], v[158:159], s[16:17]
	v_add_f64 v[150:151], v[207:208], v[150:151]
	v_add_f64 v[90:91], v[110:111], v[90:91]
	v_fma_f64 v[233:234], v[94:95], s[12:13], v[231:232]
	v_fma_f64 v[207:208], v[94:95], s[40:41], v[231:232]
	v_add_f64 v[84:85], v[233:234], v[84:85]
	v_mul_f64 v[233:234], v[138:139], s[40:41]
	v_fma_f64 v[235:236], v[106:107], s[16:17], v[233:234]
	v_add_f64 v[235:236], v[235:236], v[86:87]
	v_fma_f64 v[86:87], v[102:103], s[36:37], v[223:224]
	v_add_f64 v[86:87], v[86:87], v[84:85]
	;; [unrolled: 2-line block ×3, first 2 shown]
	v_fma_f64 v[235:236], v[116:117], s[30:31], v[252:253]
	v_fma_f64 v[116:117], v[116:117], s[34:35], v[132:133]
	v_add_f64 v[235:236], v[235:236], v[240:241]
	v_add_f64 v[116:117], v[116:117], v[175:176]
	v_add_f64 v[152:153], v[152:153], v[235:236]
	v_add_f64 v[152:153], v[207:208], v[152:153]
	v_fma_f64 v[207:208], v[106:107], s[16:17], -v[233:234]
	v_add_f64 v[150:151], v[207:208], v[150:151]
	v_fma_f64 v[207:208], v[102:103], s[18:19], v[223:224]
	v_fma_f64 v[223:224], v[136:137], s[28:29], -v[225:226]
	v_mov_b32_e32 v226, v228
	v_mov_b32_e32 v228, v220
	;; [unrolled: 1-line block ×10, first 2 shown]
	v_add_f64 v[152:153], v[207:208], v[152:153]
	v_mul_f64 v[207:208], v[140:141], s[16:17]
	v_add_f64 v[150:151], v[223:224], v[150:151]
	v_add_f64 v[185:186], v[185:186], v[207:208]
	v_mul_f64 v[207:208], v[98:99], s[16:17]
	v_add_f64 v[185:186], v[185:186], v[211:212]
	v_add_f64 v[183:184], v[207:208], -v[183:184]
	v_mul_f64 v[207:208], v[148:149], s[28:29]
	v_add_f64 v[183:184], v[183:184], v[209:210]
	v_add_f64 v[193:194], v[193:194], v[207:208]
	v_mul_f64 v[207:208], v[92:93], s[28:29]
	v_add_f64 v[185:186], v[193:194], v[185:186]
	v_add_f64 v[191:192], v[207:208], -v[191:192]
	v_mul_f64 v[207:208], v[158:159], s[22:23]
	v_add_f64 v[183:184], v[191:192], v[183:184]
	v_add_f64 v[199:200], v[199:200], v[207:208]
	v_mul_f64 v[207:208], v[106:107], s[22:23]
	v_add_f64 v[197:198], v[207:208], -v[197:198]
	v_mul_f64 v[207:208], v[146:147], s[26:27]
	v_add_f64 v[203:204], v[203:204], v[207:208]
	v_mul_f64 v[207:208], v[136:137], s[26:27]
	v_add_f64 v[201:202], v[207:208], -v[201:202]
	v_mul_f64 v[207:208], v[140:141], s[22:23]
	v_fma_f64 v[140:141], v[98:99], s[28:29], -v[118:119]
	v_fma_f64 v[118:119], v[98:99], s[28:29], v[118:119]
	v_add_f64 v[173:174], v[173:174], v[207:208]
	v_mul_f64 v[207:208], v[98:99], s[22:23]
	v_add_f64 v[140:141], v[140:141], v[250:251]
	v_add_f64 v[118:119], v[118:119], v[246:247]
	v_fma_f64 v[98:99], v[98:99], s[26:27], v[154:155]
	v_add_f64 v[173:174], v[173:174], v[215:216]
	v_add_f64 v[169:170], v[207:208], -v[169:170]
	v_mul_f64 v[207:208], v[148:149], s[26:27]
	v_fma_f64 v[148:149], v[96:97], s[2:3], v[144:145]
	v_add_f64 v[112:113], v[112:113], v[140:141]
	v_fma_f64 v[140:141], v[94:95], s[34:35], v[114:115]
	v_add_f64 v[104:105], v[104:105], v[118:119]
	v_add_f64 v[98:99], v[98:99], v[171:172]
	v_fma_f64 v[114:115], v[94:95], s[24:25], v[114:115]
	v_fma_f64 v[94:95], v[94:95], s[30:31], v[142:143]
	v_add_f64 v[169:170], v[169:170], v[213:214]
	v_add_f64 v[181:182], v[181:182], v[207:208]
	v_mul_f64 v[207:208], v[92:93], s[26:27]
	v_add_f64 v[122:123], v[148:149], v[122:123]
	v_mul_f64 v[148:149], v[138:139], s[2:3]
	v_mul_f64 v[138:139], v[138:139], s[34:35]
	v_fma_f64 v[92:93], v[92:93], s[16:17], v[160:161]
	v_add_f64 v[173:174], v[181:182], v[173:174]
	v_add_f64 v[179:180], v[207:208], -v[179:180]
	v_mul_f64 v[207:208], v[158:159], s[28:29]
	v_add_f64 v[122:123], v[140:141], v[122:123]
	v_fma_f64 v[140:141], v[106:107], s[26:27], -v[138:139]
	v_fma_f64 v[118:119], v[106:107], s[26:27], v[138:139]
	v_fma_f64 v[162:163], v[106:107], s[14:15], -v[148:149]
	v_add_f64 v[92:93], v[92:93], v[98:99]
	v_mul_f64 v[98:99], v[100:101], s[40:41]
	v_mul_f64 v[100:101], v[100:101], s[20:21]
	v_add_f64 v[181:182], v[197:198], v[183:184]
	v_add_f64 v[169:170], v[179:180], v[169:170]
	;; [unrolled: 1-line block ×3, first 2 shown]
	v_mul_f64 v[207:208], v[106:107], s[28:29]
	v_add_f64 v[112:113], v[140:141], v[112:113]
	v_fma_f64 v[140:141], v[96:97], s[30:31], v[144:145]
	v_fma_f64 v[96:97], v[96:97], s[12:13], v[164:165]
	v_mul_f64 v[179:180], v[136:137], s[14:15]
	v_add_f64 v[118:119], v[118:119], v[104:105]
	v_mul_f64 v[104:105], v[146:147], s[22:23]
	v_fma_f64 v[106:107], v[106:107], s[14:15], v[148:149]
	v_add_f64 v[156:157], v[162:163], v[156:157]
	v_fma_f64 v[144:145], v[136:137], s[22:23], -v[100:101]
	v_fma_f64 v[142:143], v[136:137], s[16:17], v[98:99]
	v_add_f64 v[173:174], v[189:190], v[173:174]
	v_add_f64 v[187:188], v[207:208], -v[187:188]
	v_mul_f64 v[207:208], v[146:147], s[14:15]
	v_add_f64 v[120:121], v[140:141], v[120:121]
	v_add_f64 v[96:97], v[96:97], v[116:117]
	v_mul_f64 v[116:117], v[146:147], s[16:17]
	v_add_f64 v[177:178], v[179:180], -v[177:178]
	v_add_f64 v[179:180], v[199:200], v[185:186]
	v_fma_f64 v[138:139], v[102:103], s[38:39], v[104:105]
	v_add_f64 v[146:147], v[106:107], v[92:93]
	v_add_f64 v[92:93], v[201:202], v[181:182]
	;; [unrolled: 1-line block ×6, first 2 shown]
	v_fma_f64 v[120:121], v[102:103], s[20:21], v[104:105]
	v_fma_f64 v[132:133], v[102:103], s[40:41], v[116:117]
	v_fma_f64 v[104:105], v[136:137], s[16:17], -v[98:99]
	v_fma_f64 v[116:117], v[102:103], s[12:13], v[116:117]
	v_add_f64 v[140:141], v[94:95], v[96:97]
	v_fma_f64 v[136:137], v[136:137], s[22:23], v[100:101]
	v_add_f64 v[94:95], v[203:204], v[179:180]
	v_add_f64 v[100:101], v[144:145], v[156:157]
	;; [unrolled: 1-line block ×8, first 2 shown]
	v_mul_u32_u24_e32 v116, 0xb0, v245
	v_and_b32_e32 v117, 15, v220
	v_add_f64 v[114:115], v[138:139], v[140:141]
	v_add_f64 v[112:113], v[136:137], v[146:147]
	v_or_b32_e32 v116, v116, v117
	v_lshlrev_b32_e32 v116, 4, v116
	ds_write_b128 v116, v[88:91]
	ds_write_b128 v116, v[92:95] offset:256
	ds_write_b128 v116, v[96:99] offset:512
	;; [unrolled: 1-line block ×10, first 2 shown]
.LBB0_19:
	s_or_b32 exec_lo, exec_lo, s33
	v_mov_b32_e32 v84, 0xba2f
	v_lshlrev_b32_e32 v85, 4, v11
	s_waitcnt lgkmcnt(0)
	s_barrier
	buffer_gl0_inv
	v_mul_u32_u24_sdwa v84, v237, v84 dst_sel:DWORD dst_unused:UNUSED_PAD src0_sel:WORD_0 src1_sel:DWORD
	v_add_co_u32 v177, s2, s4, v85
	v_add_co_ci_u32_e64 v178, null, s5, 0, s2
	v_lshrrev_b32_e32 v84, 23, v84
	v_add_co_u32 v88, s2, 0xac0, v177
	v_add_co_ci_u32_e64 v89, s2, 0, v178, s2
	v_mul_lo_u16 v84, 0xb0, v84
	s_mov_b32 s12, 0xe8584caa
	s_mov_b32 s13, 0x3febb67a
	;; [unrolled: 1-line block ×4, first 2 shown]
	v_sub_nc_u16 v179, v237, v84
	v_mov_b32_e32 v180, 4
	v_lshlrev_b16 v84, 5, v179
	v_and_b32_e32 v86, 0xffff, v84
	v_add_co_u32 v84, s2, 0x800, v177
	v_add_co_ci_u32_e64 v85, s2, 0, v178, s2
	v_add_co_u32 v94, s2, s4, v86
	v_add_co_ci_u32_e64 v95, null, s5, 0, s2
	s_clause 0x1
	global_load_dwordx4 v[84:87], v[84:85], off offset:704
	global_load_dwordx4 v[88:91], v[88:89], off offset:16
	v_add_co_u32 v92, s2, 0x800, v94
	v_add_co_ci_u32_e64 v93, s2, 0, v95, s2
	v_add_co_u32 v96, s2, 0xac0, v94
	v_add_co_ci_u32_e64 v97, s2, 0, v95, s2
	s_clause 0x1
	global_load_dwordx4 v[92:95], v[92:93], off offset:704
	global_load_dwordx4 v[96:99], v[96:97], off offset:16
	ds_read_b128 v[100:103], v217 offset:8448
	ds_read_b128 v[104:107], v217 offset:16896
	;; [unrolled: 1-line block ×7, first 2 shown]
	s_waitcnt vmcnt(3) lgkmcnt(6)
	v_mul_f64 v[136:137], v[102:103], v[86:87]
	v_mul_f64 v[138:139], v[100:101], v[86:87]
	s_waitcnt vmcnt(2) lgkmcnt(5)
	v_mul_f64 v[140:141], v[106:107], v[90:91]
	v_mul_f64 v[142:143], v[104:105], v[90:91]
	s_waitcnt lgkmcnt(4)
	v_mul_f64 v[144:145], v[110:111], v[86:87]
	v_mul_f64 v[146:147], v[108:109], v[86:87]
	s_waitcnt lgkmcnt(3)
	v_mul_f64 v[148:149], v[114:115], v[90:91]
	v_mul_f64 v[150:151], v[112:113], v[90:91]
	s_waitcnt vmcnt(1) lgkmcnt(2)
	v_mul_f64 v[152:153], v[118:119], v[94:95]
	v_mul_f64 v[154:155], v[116:117], v[94:95]
	s_waitcnt vmcnt(0) lgkmcnt(1)
	v_mul_f64 v[156:157], v[122:123], v[98:99]
	v_mul_f64 v[158:159], v[120:121], v[98:99]
	v_fma_f64 v[136:137], v[100:101], v[84:85], -v[136:137]
	v_fma_f64 v[138:139], v[102:103], v[84:85], v[138:139]
	v_fma_f64 v[140:141], v[104:105], v[88:89], -v[140:141]
	v_fma_f64 v[142:143], v[106:107], v[88:89], v[142:143]
	;; [unrolled: 2-line block ×4, first 2 shown]
	ds_read_b128 v[100:103], v217
	ds_read_b128 v[104:107], v217 offset:2816
	s_waitcnt lgkmcnt(0)
	s_barrier
	v_fma_f64 v[116:117], v[116:117], v[92:93], -v[152:153]
	v_fma_f64 v[118:119], v[118:119], v[92:93], v[154:155]
	v_fma_f64 v[144:145], v[120:121], v[96:97], -v[156:157]
	v_fma_f64 v[146:147], v[122:123], v[96:97], v[158:159]
	v_lshlrev_b32_e32 v152, 4, v10
	v_lshlrev_b32_e32 v156, 5, v237
	buffer_gl0_inv
	v_add_co_u32 v181, s2, s4, v152
	v_add_co_ci_u32_e64 v182, null, s5, 0, s2
	v_add_f64 v[120:121], v[136:137], v[140:141]
	v_add_f64 v[122:123], v[138:139], v[142:143]
	v_add_co_u32 v183, s2, s4, v156
	v_add_f64 v[148:149], v[108:109], v[112:113]
	v_add_f64 v[150:151], v[110:111], v[114:115]
	;; [unrolled: 1-line block ×3, first 2 shown]
	v_add_f64 v[158:159], v[138:139], -v[142:143]
	v_add_f64 v[138:139], v[102:103], v[138:139]
	v_add_f64 v[160:161], v[104:105], v[108:109]
	v_add_f64 v[162:163], v[110:111], -v[114:115]
	v_add_f64 v[152:153], v[116:117], v[144:145]
	v_add_f64 v[154:155], v[118:119], v[146:147]
	;; [unrolled: 1-line block ×3, first 2 shown]
	v_add_f64 v[136:137], v[136:137], -v[140:141]
	v_add_f64 v[164:165], v[108:109], -v[112:113]
	v_add_f64 v[166:167], v[132:133], v[116:117]
	v_add_f64 v[171:172], v[134:135], v[118:119]
	v_add_f64 v[169:170], v[118:119], -v[146:147]
	v_add_f64 v[173:174], v[116:117], -v[144:145]
	v_add_co_ci_u32_e64 v184, null, s5, 0, s2
	v_fma_f64 v[120:121], v[120:121], -0.5, v[100:101]
	v_fma_f64 v[122:123], v[122:123], -0.5, v[102:103]
	v_add_co_u32 v175, s2, 0x20c0, v177
	v_fma_f64 v[148:149], v[148:149], -0.5, v[104:105]
	v_fma_f64 v[150:151], v[150:151], -0.5, v[106:107]
	v_add_f64 v[100:101], v[156:157], v[140:141]
	v_add_co_ci_u32_e64 v176, s2, 0, v178, s2
	v_add_f64 v[102:103], v[138:139], v[142:143]
	v_add_f64 v[104:105], v[160:161], v[112:113]
	v_fma_f64 v[152:153], v[152:153], -0.5, v[132:133]
	v_fma_f64 v[154:155], v[154:155], -0.5, v[134:135]
	v_add_f64 v[106:107], v[110:111], v[114:115]
	v_add_co_u32 v177, s2, 0x2000, v177
	v_add_f64 v[132:133], v[166:167], v[144:145]
	v_add_f64 v[134:135], v[171:172], v[146:147]
	v_add_co_ci_u32_e64 v178, s2, 0, v178, s2
	v_add_co_u32 v144, s2, 0x20c0, v181
	v_fma_f64 v[108:109], v[158:159], s[12:13], v[120:121]
	v_fma_f64 v[110:111], v[136:137], s[14:15], v[122:123]
	;; [unrolled: 1-line block ×8, first 2 shown]
	v_add_co_ci_u32_e64 v145, s2, 0, v182, s2
	v_add_co_u32 v146, s2, 0x2000, v181
	v_fma_f64 v[136:137], v[169:170], s[12:13], v[152:153]
	v_fma_f64 v[138:139], v[173:174], s[14:15], v[154:155]
	;; [unrolled: 1-line block ×4, first 2 shown]
	v_add_co_ci_u32_e64 v147, s2, 0, v182, s2
	v_add_co_u32 v148, s2, 0x2000, v183
	v_add_co_ci_u32_e64 v149, s2, 0, v184, s2
	v_lshlrev_b32_sdwa v171, v180, v179 dst_sel:DWORD dst_unused:UNUSED_PAD src0_sel:DWORD src1_sel:WORD_0
	ds_write_b128 v217, v[100:103]
	ds_write_b128 v217, v[104:107] offset:8448
	ds_write_b128 v217, v[108:111] offset:2816
	;; [unrolled: 1-line block ×8, first 2 shown]
	v_add_co_u32 v120, s2, 0x20c0, v183
	s_waitcnt lgkmcnt(0)
	s_barrier
	buffer_gl0_inv
	s_clause 0x2
	global_load_dwordx4 v[104:107], v[177:178], off offset:192
	global_load_dwordx4 v[108:111], v[175:176], off offset:16
	;; [unrolled: 1-line block ×3, first 2 shown]
	v_add_co_ci_u32_e64 v121, s2, 0, v184, s2
	s_clause 0x2
	global_load_dwordx4 v[112:115], v[144:145], off offset:16
	global_load_dwordx4 v[116:119], v[148:149], off offset:192
	;; [unrolled: 1-line block ×3, first 2 shown]
	ds_read_b128 v[132:135], v217 offset:8448
	ds_read_b128 v[136:139], v217 offset:16896
	;; [unrolled: 1-line block ×7, first 2 shown]
	s_waitcnt vmcnt(5) lgkmcnt(6)
	v_mul_f64 v[160:161], v[134:135], v[106:107]
	v_mul_f64 v[162:163], v[132:133], v[106:107]
	s_waitcnt vmcnt(4) lgkmcnt(5)
	v_mul_f64 v[164:165], v[138:139], v[110:111]
	v_mul_f64 v[166:167], v[136:137], v[110:111]
	;; [unrolled: 3-line block ×6, first 2 shown]
	v_fma_f64 v[160:161], v[132:133], v[104:105], -v[160:161]
	v_fma_f64 v[162:163], v[134:135], v[104:105], v[162:163]
	v_fma_f64 v[164:165], v[136:137], v[108:109], -v[164:165]
	v_fma_f64 v[166:167], v[138:139], v[108:109], v[166:167]
	;; [unrolled: 2-line block ×6, first 2 shown]
	ds_read_b128 v[132:135], v217
	ds_read_b128 v[136:139], v217 offset:2816
	v_add_f64 v[169:170], v[160:161], v[164:165]
	v_add_f64 v[172:173], v[162:163], v[166:167]
	v_add_f64 v[184:185], v[162:163], -v[166:167]
	v_add_f64 v[174:175], v[140:141], v[144:145]
	v_add_f64 v[176:177], v[142:143], v[146:147]
	v_add_f64 v[188:189], v[142:143], -v[146:147]
	s_waitcnt lgkmcnt(1)
	v_add_f64 v[182:183], v[132:133], v[160:161]
	v_add_f64 v[178:179], v[148:149], v[152:153]
	v_add_f64 v[180:181], v[150:151], v[154:155]
	v_add_f64 v[162:163], v[134:135], v[162:163]
	s_waitcnt lgkmcnt(0)
	v_add_f64 v[186:187], v[136:137], v[140:141]
	v_add_f64 v[142:143], v[138:139], v[142:143]
	;; [unrolled: 1-line block ×4, first 2 shown]
	v_add_f64 v[160:161], v[160:161], -v[164:165]
	v_add_f64 v[190:191], v[140:141], -v[144:145]
	;; [unrolled: 1-line block ×3, first 2 shown]
	v_fma_f64 v[132:133], v[169:170], -0.5, v[132:133]
	v_fma_f64 v[134:135], v[172:173], -0.5, v[134:135]
	v_add_f64 v[172:173], v[148:149], -v[152:153]
	v_add_co_u32 v169, s2, 0x6000, v218
	v_fma_f64 v[174:175], v[174:175], -0.5, v[136:137]
	v_fma_f64 v[176:177], v[176:177], -0.5, v[138:139]
	v_add_f64 v[136:137], v[182:183], v[164:165]
	v_fma_f64 v[178:179], v[178:179], -0.5, v[156:157]
	v_fma_f64 v[180:181], v[180:181], -0.5, v[158:159]
	v_add_f64 v[138:139], v[162:163], v[166:167]
	v_add_f64 v[140:141], v[186:187], v[144:145]
	;; [unrolled: 1-line block ×5, first 2 shown]
	v_add_co_ci_u32_e64 v170, s2, 0, v219, s2
	v_add_co_u32 v198, s2, 0x7800, v218
	v_add_co_ci_u32_e64 v199, s2, 0, v219, s2
	v_fma_f64 v[148:149], v[184:185], s[12:13], v[132:133]
	v_fma_f64 v[150:151], v[160:161], s[14:15], v[134:135]
	;; [unrolled: 1-line block ×12, first 2 shown]
	v_add_co_u32 v172, s2, 0x9000, v218
	v_add_co_ci_u32_e64 v173, s2, 0, v219, s2
	v_add_co_u32 v174, s2, 0xa800, v218
	v_add_co_ci_u32_e64 v175, s2, 0, v219, s2
	;; [unrolled: 2-line block ×4, first 2 shown]
	ds_write_b128 v217, v[136:139]
	ds_write_b128 v217, v[140:143] offset:2816
	ds_write_b128 v217, v[144:147] offset:5632
	;; [unrolled: 1-line block ×8, first 2 shown]
	v_add_co_u32 v160, s2, 0x9800, v218
	s_waitcnt lgkmcnt(0)
	s_barrier
	buffer_gl0_inv
	global_load_dwordx4 v[136:139], v[169:170], off offset:768
	v_add_co_ci_u32_e64 v161, s2, 0, v219, s2
	v_add_co_u32 v164, s2, 0xb800, v218
	s_clause 0x3
	global_load_dwordx4 v[140:143], v[198:199], off offset:960
	global_load_dwordx4 v[144:147], v[172:173], off offset:1152
	;; [unrolled: 1-line block ×4, first 2 shown]
	v_add_co_ci_u32_e64 v165, s2, 0, v219, s2
	s_clause 0x2
	global_load_dwordx4 v[156:159], v[178:179], off offset:1728
	global_load_dwordx4 v[160:163], v[160:161], off offset:1920
	;; [unrolled: 1-line block ×3, first 2 shown]
	ds_read_b128 v[172:175], v217
	ds_read_b128 v[176:179], v217 offset:6336
	ds_read_b128 v[180:183], v217 offset:12672
	;; [unrolled: 1-line block ×7, first 2 shown]
	s_waitcnt vmcnt(7) lgkmcnt(7)
	v_mul_f64 v[204:205], v[174:175], v[138:139]
	v_mul_f64 v[138:139], v[172:173], v[138:139]
	s_waitcnt vmcnt(6) lgkmcnt(6)
	v_mul_f64 v[206:207], v[178:179], v[142:143]
	v_mul_f64 v[142:143], v[176:177], v[142:143]
	;; [unrolled: 3-line block ×8, first 2 shown]
	v_fma_f64 v[172:173], v[172:173], v[136:137], -v[204:205]
	v_fma_f64 v[174:175], v[174:175], v[136:137], v[138:139]
	v_fma_f64 v[136:137], v[176:177], v[140:141], -v[206:207]
	v_fma_f64 v[138:139], v[178:179], v[140:141], v[142:143]
	;; [unrolled: 2-line block ×8, first 2 shown]
	ds_write_b128 v217, v[172:175]
	ds_write_b128 v217, v[136:139] offset:6336
	ds_write_b128 v217, v[140:143] offset:12672
	;; [unrolled: 1-line block ×7, first 2 shown]
	s_and_saveexec_b32 s3, vcc_lo
	s_cbranch_execz .LBB0_21
; %bb.20:
	v_add_co_u32 v142, s2, 0x6300, v218
	v_add_co_ci_u32_e64 v143, s2, 0, v219, s2
	v_add_co_u32 v136, s2, 0x1000, v142
	v_add_co_ci_u32_e64 v137, s2, 0, v143, s2
	;; [unrolled: 2-line block ×4, first 2 shown]
	v_add_co_u32 v148, s2, 0x6000, v142
	global_load_dwordx4 v[136:139], v[136:137], off offset:1536
	v_add_co_ci_u32_e64 v149, s2, 0, v143, s2
	s_clause 0x2
	global_load_dwordx4 v[140:143], v[140:141], off offset:1728
	global_load_dwordx4 v[144:147], v[144:145], off offset:1920
	global_load_dwordx4 v[148:151], v[148:149], off offset:64
	ds_read_b128 v[152:155], v217 offset:5632
	ds_read_b128 v[156:159], v217 offset:11968
	;; [unrolled: 1-line block ×4, first 2 shown]
	s_waitcnt vmcnt(3) lgkmcnt(3)
	v_mul_f64 v[172:173], v[154:155], v[138:139]
	v_mul_f64 v[138:139], v[152:153], v[138:139]
	s_waitcnt vmcnt(2) lgkmcnt(2)
	v_mul_f64 v[174:175], v[158:159], v[142:143]
	v_mul_f64 v[142:143], v[156:157], v[142:143]
	;; [unrolled: 3-line block ×4, first 2 shown]
	v_fma_f64 v[150:151], v[152:153], v[136:137], -v[172:173]
	v_fma_f64 v[152:153], v[154:155], v[136:137], v[138:139]
	v_fma_f64 v[136:137], v[156:157], v[140:141], -v[174:175]
	v_fma_f64 v[138:139], v[158:159], v[140:141], v[142:143]
	;; [unrolled: 2-line block ×4, first 2 shown]
	ds_write_b128 v217, v[150:153] offset:5632
	ds_write_b128 v217, v[136:139] offset:11968
	;; [unrolled: 1-line block ×4, first 2 shown]
.LBB0_21:
	s_or_b32 exec_lo, exec_lo, s3
	s_waitcnt lgkmcnt(0)
	s_barrier
	buffer_gl0_inv
	ds_read_b128 v[136:139], v217
	ds_read_b128 v[140:143], v217 offset:2816
	ds_read_b128 v[148:151], v217 offset:6336
	;; [unrolled: 1-line block ×7, first 2 shown]
	s_and_saveexec_b32 s2, vcc_lo
	s_cbranch_execz .LBB0_23
; %bb.22:
	ds_read_b128 v[132:135], v217 offset:5632
	ds_read_b128 v[124:127], v217 offset:11968
	;; [unrolled: 1-line block ×4, first 2 shown]
.LBB0_23:
	s_or_b32 exec_lo, exec_lo, s2
	s_waitcnt lgkmcnt(1)
	v_add_f64 v[128:129], v[132:133], -v[128:129]
	v_add_f64 v[130:131], v[134:135], -v[130:131]
	s_waitcnt lgkmcnt(0)
	v_add_f64 v[52:53], v[124:125], -v[52:53]
	v_add_f64 v[54:55], v[126:127], -v[54:55]
	;; [unrolled: 1-line block ×10, first 2 shown]
	s_barrier
	buffer_gl0_inv
	v_fma_f64 v[184:185], v[132:133], 2.0, -v[128:129]
	v_fma_f64 v[186:187], v[134:135], 2.0, -v[130:131]
	;; [unrolled: 1-line block ×12, first 2 shown]
	v_add_f64 v[132:133], v[128:129], v[54:55]
	v_add_f64 v[134:135], v[130:131], -v[52:53]
	v_add_f64 v[136:137], v[164:165], v[162:163]
	v_add_f64 v[138:139], v[166:167], -v[160:161]
	v_add_f64 v[140:141], v[156:157], v[154:155]
	v_add_f64 v[142:143], v[158:159], -v[152:153]
	v_add_f64 v[52:53], v[184:185], -v[124:125]
	v_add_f64 v[54:55], v[186:187], -v[126:127]
	;; [unrolled: 1-line block ×6, first 2 shown]
	v_fma_f64 v[128:129], v[128:129], 2.0, -v[132:133]
	v_fma_f64 v[130:131], v[130:131], 2.0, -v[134:135]
	;; [unrolled: 1-line block ×12, first 2 shown]
	ds_write_b128 v228, v[136:139] offset:48
	ds_write_b128 v228, v[152:155] offset:16
	;; [unrolled: 1-line block ×5, first 2 shown]
	ds_write_b128 v228, v[160:163]
	ds_write_b128 v1, v[164:167]
	ds_write_b128 v1, v[140:143] offset:48
	s_and_saveexec_b32 s2, vcc_lo
	s_cbranch_execz .LBB0_25
; %bb.24:
	ds_write_b128 v239, v[124:127]
	ds_write_b128 v239, v[128:131] offset:16
	ds_write_b128 v239, v[52:55] offset:32
	;; [unrolled: 1-line block ×3, first 2 shown]
.LBB0_25:
	s_or_b32 exec_lo, exec_lo, s2
	s_waitcnt lgkmcnt(0)
	s_barrier
	buffer_gl0_inv
	ds_read_b128 v[132:135], v217
	ds_read_b128 v[136:139], v217 offset:2816
	ds_read_b128 v[152:155], v217 offset:12672
	;; [unrolled: 1-line block ×7, first 2 shown]
	s_and_saveexec_b32 s2, s0
	s_cbranch_execz .LBB0_27
; %bb.26:
	ds_read_b128 v[124:127], v217 offset:11264
	ds_read_b128 v[128:131], v217 offset:23936
.LBB0_27:
	s_or_b32 exec_lo, exec_lo, s2
	s_waitcnt lgkmcnt(5)
	v_mul_f64 v[164:165], v[38:39], v[154:155]
	v_mul_f64 v[166:167], v[38:39], v[152:153]
	s_waitcnt lgkmcnt(4)
	v_mul_f64 v[172:173], v[38:39], v[150:151]
	v_mul_f64 v[174:175], v[38:39], v[148:149]
	s_waitcnt lgkmcnt(1)
	v_mul_f64 v[176:177], v[38:39], v[162:163]
	v_mul_f64 v[178:179], v[38:39], v[160:161]
	s_waitcnt lgkmcnt(0)
	v_mul_f64 v[180:181], v[38:39], v[158:159]
	v_mul_f64 v[182:183], v[38:39], v[156:157]
	v_mul_f64 v[184:185], v[38:39], v[130:131]
	v_mul_f64 v[38:39], v[38:39], v[128:129]
	s_barrier
	buffer_gl0_inv
	v_fma_f64 v[152:153], v[36:37], v[152:153], v[164:165]
	v_fma_f64 v[154:155], v[36:37], v[154:155], -v[166:167]
	v_fma_f64 v[148:149], v[36:37], v[148:149], v[172:173]
	v_fma_f64 v[150:151], v[36:37], v[150:151], -v[174:175]
	;; [unrolled: 2-line block ×5, first 2 shown]
	v_add_f64 v[128:129], v[132:133], -v[152:153]
	v_add_f64 v[130:131], v[134:135], -v[154:155]
	;; [unrolled: 1-line block ×10, first 2 shown]
	v_fma_f64 v[132:133], v[132:133], 2.0, -v[128:129]
	v_fma_f64 v[134:135], v[134:135], 2.0, -v[130:131]
	;; [unrolled: 1-line block ×10, first 2 shown]
	ds_write_b128 v6, v[128:131] offset:64
	ds_write_b128 v6, v[132:135]
	ds_write_b128 v0, v[136:139]
	ds_write_b128 v0, v[148:151] offset:64
	ds_write_b128 v3, v[140:143]
	ds_write_b128 v3, v[156:159] offset:64
	;; [unrolled: 2-line block ×3, first 2 shown]
	s_and_saveexec_b32 s2, s0
	s_cbranch_execz .LBB0_29
; %bb.28:
	v_and_or_b32 v124, 0x7f8, v238, v168
	v_lshlrev_b32_e32 v124, 4, v124
	ds_write_b128 v124, v[152:155]
	ds_write_b128 v124, v[36:39] offset:64
.LBB0_29:
	s_or_b32 exec_lo, exec_lo, s2
	s_waitcnt lgkmcnt(0)
	s_barrier
	buffer_gl0_inv
	ds_read_b128 v[128:131], v217
	ds_read_b128 v[136:139], v217 offset:2816
	ds_read_b128 v[132:135], v217 offset:12672
	;; [unrolled: 1-line block ×7, first 2 shown]
	s_and_saveexec_b32 s2, s0
	s_cbranch_execz .LBB0_31
; %bb.30:
	ds_read_b128 v[152:155], v217 offset:11264
	ds_read_b128 v[36:39], v217 offset:23936
.LBB0_31:
	s_or_b32 exec_lo, exec_lo, s2
	s_waitcnt lgkmcnt(5)
	v_mul_f64 v[160:161], v[42:43], v[134:135]
	v_mul_f64 v[162:163], v[42:43], v[132:133]
	s_waitcnt lgkmcnt(4)
	v_mul_f64 v[164:165], v[42:43], v[126:127]
	v_mul_f64 v[166:167], v[42:43], v[124:125]
	;; [unrolled: 3-line block ×4, first 2 shown]
	v_mul_f64 v[180:181], v[42:43], v[38:39]
	v_mul_f64 v[42:43], v[42:43], v[36:37]
	s_barrier
	buffer_gl0_inv
	v_fma_f64 v[132:133], v[40:41], v[132:133], v[160:161]
	v_fma_f64 v[134:135], v[40:41], v[134:135], -v[162:163]
	v_fma_f64 v[124:125], v[40:41], v[124:125], v[164:165]
	v_fma_f64 v[126:127], v[40:41], v[126:127], -v[166:167]
	;; [unrolled: 2-line block ×5, first 2 shown]
	v_add_f64 v[40:41], v[128:129], -v[132:133]
	v_add_f64 v[42:43], v[130:131], -v[134:135]
	;; [unrolled: 1-line block ×10, first 2 shown]
	v_fma_f64 v[36:37], v[128:129], 2.0, -v[40:41]
	v_fma_f64 v[38:39], v[130:131], 2.0, -v[42:43]
	;; [unrolled: 1-line block ×10, first 2 shown]
	ds_write_b128 v9, v[40:43] offset:128
	ds_write_b128 v9, v[36:39]
	ds_write_b128 v4, v[128:131]
	ds_write_b128 v4, v[124:127] offset:128
	ds_write_b128 v8, v[136:139]
	ds_write_b128 v8, v[132:135] offset:128
	;; [unrolled: 2-line block ×3, first 2 shown]
	s_and_saveexec_b32 s2, s0
	s_cbranch_execz .LBB0_33
; %bb.32:
	v_and_or_b32 v156, 0x7f0, v238, v226
	v_lshlrev_b32_e32 v156, 4, v156
	ds_write_b128 v156, v[152:155]
	ds_write_b128 v156, v[148:151] offset:128
.LBB0_33:
	s_or_b32 exec_lo, exec_lo, s2
	s_waitcnt lgkmcnt(0)
	s_barrier
	buffer_gl0_inv
	s_and_saveexec_b32 s0, s1
	s_cbranch_execz .LBB0_35
; %bb.34:
	ds_read_b128 v[36:39], v217
	ds_read_b128 v[40:43], v217 offset:2304
	ds_read_b128 v[128:131], v217 offset:4608
	;; [unrolled: 1-line block ×10, first 2 shown]
.LBB0_35:
	s_or_b32 exec_lo, exec_lo, s0
	s_waitcnt lgkmcnt(0)
	s_barrier
	buffer_gl0_inv
	s_and_saveexec_b32 s33, s1
	s_cbranch_execz .LBB0_37
; %bb.36:
	v_mul_f64 v[156:157], v[34:35], v[42:43]
	v_mul_f64 v[158:159], v[66:67], v[54:55]
	;; [unrolled: 1-line block ×19, first 2 shown]
	s_mov_b32 s22, 0xfd768dbf
	s_mov_b32 s23, 0xbfd207e7
	;; [unrolled: 1-line block ×3, first 2 shown]
	v_fma_f64 v[156:157], v[32:33], v[40:41], v[156:157]
	v_fma_f64 v[34:35], v[64:65], v[52:53], v[158:159]
	v_mul_f64 v[158:159], v[58:59], v[126:127]
	v_fma_f64 v[66:67], v[80:81], v[132:133], v[160:161]
	v_fma_f64 v[58:59], v[76:77], v[144:145], v[162:163]
	;; [unrolled: 1-line block ×4, first 2 shown]
	v_fma_f64 v[132:133], v[32:33], v[42:43], -v[176:177]
	v_fma_f64 v[32:33], v[64:65], v[54:55], -v[178:179]
	;; [unrolled: 1-line block ×3, first 2 shown]
	v_fma_f64 v[78:79], v[68:69], v[136:137], v[164:165]
	v_fma_f64 v[52:53], v[72:73], v[140:141], v[166:167]
	v_fma_f64 v[68:69], v[68:69], v[138:139], -v[70:71]
	v_fma_f64 v[54:55], v[72:73], v[142:143], -v[74:75]
	v_fma_f64 v[46:47], v[60:61], v[152:153], v[180:181]
	s_mov_b32 s14, 0xf8bb580b
	v_fma_f64 v[50:51], v[60:61], v[154:155], -v[184:185]
	v_fma_f64 v[44:45], v[44:45], v[130:131], -v[186:187]
	;; [unrolled: 1-line block ×3, first 2 shown]
	s_mov_b32 s4, 0x9bcd5057
	s_mov_b32 s19, 0xbfe82f19
	;; [unrolled: 1-line block ×4, first 2 shown]
	v_add_f64 v[76:77], v[156:157], -v[34:35]
	v_fma_f64 v[70:71], v[56:57], v[124:125], v[158:159]
	v_fma_f64 v[56:57], v[56:57], v[126:127], -v[182:183]
	v_add_f64 v[148:149], v[34:35], v[156:157]
	s_mov_b32 s16, 0x43842ef
	v_add_f64 v[48:49], v[128:129], -v[40:41]
	s_mov_b32 s2, 0x7f775887
	v_add_f64 v[60:61], v[132:133], -v[32:33]
	v_add_f64 v[72:73], v[32:33], v[132:133]
	s_mov_b32 s12, 0x8764f0ba
	s_mov_b32 s17, 0xbfefac9e
	;; [unrolled: 1-line block ×6, first 2 shown]
	v_fma_f64 v[64:65], v[80:81], v[134:135], -v[82:83]
	v_add_f64 v[82:83], v[78:79], -v[52:53]
	v_add_f64 v[136:137], v[44:45], -v[42:43]
	v_add_f64 v[144:145], v[42:43], v[44:45]
	v_add_f64 v[162:163], v[40:41], v[128:129]
	s_mov_b32 s0, 0x640f44db
	s_mov_b32 s1, 0xbfc2375f
	v_mul_f64 v[74:75], v[76:77], s[22:23]
	v_add_f64 v[124:125], v[70:71], -v[46:47]
	v_mul_f64 v[176:177], v[76:77], s[18:19]
	v_add_f64 v[134:135], v[56:57], -v[50:51]
	v_add_f64 v[142:143], v[56:57], v[50:51]
	v_mul_f64 v[150:151], v[48:49], s[14:15]
	v_mul_f64 v[192:193], v[48:49], s[26:27]
	;; [unrolled: 1-line block ×6, first 2 shown]
	s_mov_b32 s25, 0x3fed1bb4
	s_mov_b32 s24, 0x8eee2c13
	;; [unrolled: 1-line block ×6, first 2 shown]
	v_mul_f64 v[182:183], v[136:137], s[14:15]
	v_add_f64 v[80:81], v[66:67], -v[58:59]
	v_add_f64 v[130:131], v[68:69], -v[54:55]
	v_add_f64 v[140:141], v[68:69], v[54:55]
	v_add_f64 v[158:159], v[70:71], v[46:47]
	v_fma_f64 v[160:161], v[72:73], s[4:5], v[74:75]
	v_mul_f64 v[172:173], v[124:125], s[18:19]
	v_fma_f64 v[74:75], v[72:73], s[4:5], -v[74:75]
	v_fma_f64 v[214:215], v[72:73], s[2:3], v[176:177]
	v_add_f64 v[132:133], v[38:39], v[132:133]
	v_fma_f64 v[196:197], v[144:145], s[12:13], v[150:151]
	v_add_f64 v[156:157], v[36:37], v[156:157]
	v_fma_f64 v[198:199], v[148:149], s[4:5], -v[152:153]
	v_fma_f64 v[152:153], v[148:149], s[4:5], v[152:153]
	v_mul_f64 v[166:167], v[82:83], s[24:25]
	v_mul_f64 v[180:181], v[134:135], s[18:19]
	;; [unrolled: 1-line block ×6, first 2 shown]
	v_fma_f64 v[233:234], v[148:149], s[2:3], -v[190:191]
	v_fma_f64 v[150:151], v[144:145], s[12:13], -v[150:151]
	;; [unrolled: 1-line block ×3, first 2 shown]
	v_fma_f64 v[182:183], v[162:163], s[12:13], v[182:183]
	v_fma_f64 v[176:177], v[72:73], s[2:3], -v[176:177]
	v_fma_f64 v[190:191], v[148:149], s[2:3], v[190:191]
	v_fma_f64 v[235:236], v[144:145], s[0:1], v[192:193]
	v_add_f64 v[160:161], v[38:39], v[160:161]
	v_fma_f64 v[229:230], v[142:143], s[2:3], v[172:173]
	v_add_f64 v[74:75], v[38:39], v[74:75]
	v_add_f64 v[214:215], v[38:39], v[214:215]
	v_fma_f64 v[241:242], v[148:149], s[0:1], -v[227:228]
	s_mov_b32 s20, 0xd9c712b6
	s_mov_b32 s21, 0x3fda9628
	v_add_f64 v[198:199], v[36:37], v[198:199]
	v_add_f64 v[152:153], v[36:37], v[152:153]
	;; [unrolled: 1-line block ×4, first 2 shown]
	v_mul_f64 v[164:165], v[80:81], s[16:17]
	v_mul_f64 v[178:179], v[130:131], s[24:25]
	;; [unrolled: 1-line block ×5, first 2 shown]
	v_add_f64 v[44:45], v[44:45], v[132:133]
	v_add_f64 v[128:129], v[128:129], v[156:157]
	v_fma_f64 v[156:157], v[140:141], s[20:21], v[166:167]
	v_fma_f64 v[239:240], v[158:159], s[2:3], -v[180:181]
	v_fma_f64 v[172:173], v[142:143], s[2:3], -v[172:173]
	v_fma_f64 v[180:181], v[158:159], s[2:3], v[180:181]
	v_add_f64 v[160:161], v[196:197], v[160:161]
	v_fma_f64 v[196:197], v[72:73], s[0:1], v[210:211]
	v_fma_f64 v[243:244], v[162:163], s[0:1], -v[204:205]
	v_fma_f64 v[192:193], v[144:145], s[0:1], -v[192:193]
	v_fma_f64 v[204:205], v[162:163], s[0:1], v[204:205]
	v_add_f64 v[176:177], v[38:39], v[176:177]
	v_add_f64 v[74:75], v[150:151], v[74:75]
	;; [unrolled: 1-line block ×5, first 2 shown]
	v_fma_f64 v[231:232], v[162:163], s[4:5], -v[225:226]
	v_add_f64 v[235:236], v[36:37], v[241:242]
	v_add_f64 v[126:127], v[64:65], -v[62:63]
	v_mul_f64 v[186:187], v[82:83], s[22:23]
	v_mul_f64 v[200:201], v[130:131], s[22:23]
	;; [unrolled: 1-line block ×4, first 2 shown]
	v_fma_f64 v[132:133], v[138:139], s[0:1], v[164:165]
	v_fma_f64 v[182:183], v[154:155], s[20:21], -v[178:179]
	v_fma_f64 v[166:167], v[140:141], s[20:21], -v[166:167]
	v_fma_f64 v[178:179], v[154:155], s[20:21], v[178:179]
	v_fma_f64 v[241:242], v[158:159], s[12:13], -v[202:203]
	v_add_f64 v[152:153], v[229:230], v[160:161]
	v_add_f64 v[160:161], v[36:37], v[190:191]
	v_fma_f64 v[190:191], v[144:145], s[4:5], v[212:213]
	v_add_f64 v[196:197], v[38:39], v[196:197]
	v_fma_f64 v[229:230], v[142:143], s[12:13], v[188:189]
	v_fma_f64 v[188:189], v[142:143], s[12:13], -v[188:189]
	v_fma_f64 v[202:203], v[158:159], s[12:13], v[202:203]
	v_add_f64 v[176:177], v[192:193], v[176:177]
	v_add_f64 v[192:193], v[239:240], v[198:199]
	;; [unrolled: 1-line block ×4, first 2 shown]
	v_fma_f64 v[180:181], v[148:149], s[0:1], v[227:228]
	v_fma_f64 v[198:199], v[142:143], s[20:21], v[208:209]
	v_add_f64 v[227:228], v[231:232], v[235:236]
	v_add_f64 v[56:57], v[56:57], v[44:45]
	;; [unrolled: 1-line block ×3, first 2 shown]
	v_mul_f64 v[184:185], v[80:81], s[24:25]
	v_mul_f64 v[194:195], v[126:127], s[24:25]
	s_mov_b32 s25, 0xbfed1bb4
	v_add_f64 v[146:147], v[58:59], v[66:67]
	v_fma_f64 v[210:211], v[72:73], s[0:1], -v[210:211]
	v_fma_f64 v[172:173], v[140:141], s[4:5], v[186:187]
	v_add_f64 v[152:153], v[156:157], v[152:153]
	v_add_f64 v[156:157], v[204:205], v[160:161]
	v_fma_f64 v[186:187], v[140:141], s[4:5], -v[186:187]
	v_add_f64 v[190:191], v[190:191], v[196:197]
	v_add_f64 v[204:205], v[229:230], v[214:215]
	v_fma_f64 v[214:215], v[158:159], s[20:21], -v[223:224]
	v_fma_f64 v[196:197], v[154:155], s[4:5], -v[200:201]
	v_fma_f64 v[200:201], v[154:155], s[4:5], v[200:201]
	v_add_f64 v[176:177], v[188:189], v[176:177]
	v_add_f64 v[182:183], v[182:183], v[192:193]
	;; [unrolled: 1-line block ×5, first 2 shown]
	v_fma_f64 v[178:179], v[140:141], s[12:13], v[206:207]
	v_mul_f64 v[188:189], v[76:77], s[24:25]
	v_fma_f64 v[192:193], v[154:155], s[12:13], -v[221:222]
	v_mul_f64 v[76:77], v[76:77], s[28:29]
	v_add_f64 v[56:57], v[68:69], v[56:57]
	v_add_f64 v[68:69], v[78:79], v[70:71]
	v_mul_f64 v[70:71], v[60:61], s[28:29]
	v_mul_f64 v[60:61], v[60:61], s[24:25]
	v_fma_f64 v[212:213], v[144:145], s[4:5], -v[212:213]
	v_add_f64 v[44:45], v[132:133], v[152:153]
	v_add_f64 v[132:133], v[202:203], v[156:157]
	v_fma_f64 v[156:157], v[162:163], s[4:5], v[225:226]
	v_add_f64 v[180:181], v[198:199], v[190:191]
	v_add_f64 v[128:129], v[38:39], v[210:211]
	;; [unrolled: 1-line block ×3, first 2 shown]
	v_fma_f64 v[202:203], v[146:147], s[20:21], -v[194:195]
	v_add_f64 v[172:173], v[172:173], v[204:205]
	v_add_f64 v[176:177], v[186:187], v[176:177]
	v_fma_f64 v[186:187], v[146:147], s[20:21], v[194:195]
	v_fma_f64 v[194:195], v[158:159], s[20:21], v[223:224]
	v_mul_f64 v[204:205], v[136:137], s[18:19]
	v_mul_f64 v[136:137], v[136:137], s[24:25]
	v_add_f64 v[233:234], v[36:37], v[233:234]
	v_fma_f64 v[160:161], v[138:139], s[20:21], v[184:185]
	v_fma_f64 v[78:79], v[138:139], s[20:21], -v[184:185]
	v_fma_f64 v[184:185], v[142:143], s[20:21], -v[208:209]
	v_add_f64 v[56:57], v[64:65], v[56:57]
	v_add_f64 v[64:65], v[66:67], v[68:69]
	v_fma_f64 v[66:67], v[148:149], s[12:13], v[70:71]
	v_fma_f64 v[68:69], v[148:149], s[20:21], v[60:61]
	v_fma_f64 v[60:61], v[148:149], s[20:21], -v[60:61]
	v_fma_f64 v[70:71], v[148:149], s[12:13], -v[70:71]
	v_add_f64 v[132:133], v[200:201], v[132:133]
	v_add_f64 v[156:157], v[156:157], v[166:167]
	;; [unrolled: 1-line block ×3, first 2 shown]
	v_mul_f64 v[180:181], v[48:49], s[18:19]
	v_fma_f64 v[200:201], v[72:73], s[20:21], -v[188:189]
	v_add_f64 v[192:193], v[192:193], v[198:199]
	v_mul_f64 v[48:49], v[48:49], s[24:25]
	v_fma_f64 v[198:199], v[72:73], s[12:13], -v[76:77]
	v_fma_f64 v[188:189], v[72:73], s[20:21], v[188:189]
	v_fma_f64 v[72:73], v[72:73], s[12:13], v[76:77]
	v_add_f64 v[128:129], v[212:213], v[128:129]
	v_mul_f64 v[148:149], v[124:125], s[30:31]
	v_mul_f64 v[124:125], v[124:125], s[16:17]
	v_fma_f64 v[214:215], v[162:163], s[20:21], v[136:137]
	v_fma_f64 v[210:211], v[162:163], s[2:3], v[204:205]
	v_add_f64 v[233:234], v[243:244], v[233:234]
	v_add_f64 v[56:57], v[62:63], v[56:57]
	;; [unrolled: 1-line block ×7, first 2 shown]
	v_mul_f64 v[70:71], v[82:83], s[26:27]
	v_add_f64 v[76:77], v[194:195], v[156:157]
	v_mul_f64 v[156:157], v[134:135], s[30:31]
	v_fma_f64 v[194:195], v[144:145], s[2:3], -v[180:181]
	v_add_f64 v[200:201], v[38:39], v[200:201]
	v_mul_f64 v[134:135], v[134:135], s[16:17]
	v_fma_f64 v[212:213], v[144:145], s[20:21], -v[48:49]
	v_add_f64 v[198:199], v[38:39], v[198:199]
	v_fma_f64 v[66:67], v[144:145], s[2:3], v[180:181]
	v_add_f64 v[68:69], v[38:39], v[188:189]
	v_fma_f64 v[180:181], v[162:163], s[2:3], -v[204:205]
	v_fma_f64 v[48:49], v[144:145], s[20:21], v[48:49]
	v_add_f64 v[38:39], v[38:39], v[72:73]
	v_fma_f64 v[72:73], v[162:163], s[20:21], -v[136:137]
	v_mul_f64 v[82:83], v[82:83], s[18:19]
	v_mul_f64 v[136:137], v[130:131], s[26:27]
	v_add_f64 v[54:55], v[54:55], v[56:57]
	v_add_f64 v[52:53], v[52:53], v[58:59]
	v_fma_f64 v[144:145], v[142:143], s[4:5], -v[148:149]
	v_mul_f64 v[130:131], v[130:131], s[18:19]
	v_add_f64 v[56:57], v[214:215], v[62:63]
	v_add_f64 v[58:59], v[210:211], v[64:65]
	v_fma_f64 v[62:63], v[142:143], s[4:5], v[148:149]
	v_mul_f64 v[152:153], v[80:81], s[18:19]
	v_fma_f64 v[188:189], v[158:159], s[4:5], v[156:157]
	v_fma_f64 v[206:207], v[140:141], s[12:13], -v[206:207]
	v_add_f64 v[162:163], v[194:195], v[200:201]
	v_fma_f64 v[194:195], v[142:143], s[0:1], -v[124:125]
	v_fma_f64 v[200:201], v[158:159], s[0:1], v[134:135]
	v_add_f64 v[198:199], v[212:213], v[198:199]
	v_add_f64 v[128:129], v[184:185], v[128:129]
	;; [unrolled: 1-line block ×3, first 2 shown]
	v_fma_f64 v[66:67], v[158:159], s[4:5], -v[156:157]
	v_add_f64 v[60:61], v[180:181], v[60:61]
	v_fma_f64 v[68:69], v[142:143], s[0:1], v[124:125]
	v_add_f64 v[38:39], v[48:49], v[38:39]
	v_fma_f64 v[48:49], v[158:159], s[0:1], -v[134:135]
	v_add_f64 v[36:37], v[72:73], v[36:37]
	v_fma_f64 v[148:149], v[140:141], s[2:3], -v[82:83]
	v_add_f64 v[50:51], v[50:51], v[54:55]
	v_add_f64 v[46:47], v[46:47], v[52:53]
	v_mul_f64 v[174:175], v[126:127], s[16:17]
	v_mul_f64 v[190:191], v[126:127], s[18:19]
	;; [unrolled: 1-line block ×4, first 2 shown]
	v_fma_f64 v[134:135], v[140:141], s[0:1], -v[70:71]
	v_mul_f64 v[80:81], v[80:81], s[22:23]
	v_mul_f64 v[126:127], v[126:127], s[22:23]
	v_add_f64 v[142:143], v[144:145], v[162:163]
	v_fma_f64 v[158:159], v[154:155], s[2:3], v[130:131]
	v_add_f64 v[52:53], v[200:201], v[56:57]
	v_add_f64 v[156:157], v[194:195], v[198:199]
	v_fma_f64 v[144:145], v[154:155], s[0:1], v[136:137]
	v_add_f64 v[54:55], v[188:189], v[58:59]
	v_fma_f64 v[184:185], v[154:155], s[12:13], v[221:222]
	;; [unrolled: 2-line block ×3, first 2 shown]
	v_add_f64 v[58:59], v[62:63], v[64:65]
	v_fma_f64 v[62:63], v[154:155], s[0:1], -v[136:137]
	v_add_f64 v[60:61], v[66:67], v[60:61]
	v_fma_f64 v[64:65], v[140:141], s[2:3], v[82:83]
	v_add_f64 v[38:39], v[68:69], v[38:39]
	v_fma_f64 v[66:67], v[154:155], s[2:3], -v[130:131]
	v_add_f64 v[36:37], v[48:49], v[36:37]
	v_fma_f64 v[68:69], v[138:139], s[2:3], -v[152:153]
	v_add_f64 v[70:71], v[206:207], v[128:129]
	v_add_f64 v[40:41], v[40:41], v[46:47]
	v_fma_f64 v[166:167], v[138:139], s[2:3], v[152:153]
	v_fma_f64 v[136:137], v[138:139], s[4:5], -v[80:81]
	v_fma_f64 v[128:129], v[138:139], s[12:13], -v[72:73]
	v_add_f64 v[130:131], v[134:135], v[142:143]
	v_fma_f64 v[142:143], v[146:147], s[4:5], v[126:127]
	v_add_f64 v[152:153], v[158:159], v[52:53]
	v_add_f64 v[140:141], v[148:149], v[156:157]
	;; [unrolled: 1-line block ×3, first 2 shown]
	v_fma_f64 v[134:135], v[146:147], s[12:13], v[124:125]
	v_add_f64 v[54:55], v[144:145], v[54:55]
	v_fma_f64 v[82:83], v[146:147], s[2:3], v[190:191]
	v_add_f64 v[76:77], v[184:185], v[76:77]
	v_fma_f64 v[237:238], v[146:147], s[0:1], -v[174:175]
	v_fma_f64 v[164:165], v[138:139], s[0:1], -v[164:165]
	v_fma_f64 v[174:175], v[146:147], s[0:1], v[174:175]
	v_add_f64 v[196:197], v[196:197], v[229:230]
	v_fma_f64 v[208:209], v[146:147], s[2:3], -v[190:191]
	v_fma_f64 v[72:73], v[138:139], s[12:13], v[72:73]
	v_add_f64 v[144:145], v[56:57], v[58:59]
	v_fma_f64 v[124:125], v[146:147], s[12:13], -v[124:125]
	v_add_f64 v[154:155], v[62:63], v[60:61]
	v_fma_f64 v[80:81], v[138:139], s[4:5], v[80:81]
	v_add_f64 v[138:139], v[64:65], v[38:39]
	v_fma_f64 v[126:127], v[146:147], s[4:5], -v[126:127]
	v_add_f64 v[146:147], v[66:67], v[36:37]
	v_add_f64 v[56:57], v[68:69], v[70:71]
	;; [unrolled: 1-line block ×16, first 2 shown]
	v_mul_u32_u24_e32 v40, 0xb0, v245
	v_and_b32_e32 v41, 15, v220
	v_add_f64 v[34:35], v[166:167], v[178:179]
	v_add_f64 v[32:33], v[208:209], v[192:193]
	;; [unrolled: 1-line block ×6, first 2 shown]
	v_or_b32_e32 v40, v40, v41
	v_lshlrev_b32_e32 v40, 4, v40
	ds_write_b128 v40, v[66:69]
	ds_write_b128 v40, v[62:65] offset:256
	ds_write_b128 v40, v[58:61] offset:512
	;; [unrolled: 1-line block ×10, first 2 shown]
.LBB0_37:
	s_or_b32 exec_lo, exec_lo, s33
	s_waitcnt lgkmcnt(0)
	s_barrier
	buffer_gl0_inv
	ds_read_b128 v[32:35], v217 offset:8448
	ds_read_b128 v[36:39], v217 offset:16896
	;; [unrolled: 1-line block ×7, first 2 shown]
	s_mov_b32 s0, 0xe8584caa
	s_mov_b32 s1, 0xbfebb67a
	;; [unrolled: 1-line block ×6, first 2 shown]
	s_waitcnt lgkmcnt(6)
	v_mul_f64 v[60:61], v[86:87], v[34:35]
	s_waitcnt lgkmcnt(5)
	v_mul_f64 v[62:63], v[90:91], v[38:39]
	v_mul_f64 v[64:65], v[86:87], v[32:33]
	v_mul_f64 v[66:67], v[90:91], v[36:37]
	s_waitcnt lgkmcnt(4)
	v_mul_f64 v[68:69], v[86:87], v[42:43]
	s_waitcnt lgkmcnt(3)
	v_mul_f64 v[70:71], v[90:91], v[46:47]
	v_mul_f64 v[72:73], v[86:87], v[40:41]
	v_mul_f64 v[74:75], v[90:91], v[44:45]
	;; [unrolled: 6-line block ×3, first 2 shown]
	v_fma_f64 v[60:61], v[84:85], v[32:33], v[60:61]
	v_fma_f64 v[62:63], v[88:89], v[36:37], v[62:63]
	v_fma_f64 v[64:65], v[84:85], v[34:35], -v[64:65]
	v_fma_f64 v[66:67], v[88:89], v[38:39], -v[66:67]
	v_fma_f64 v[40:41], v[84:85], v[40:41], v[68:69]
	v_fma_f64 v[44:45], v[88:89], v[44:45], v[70:71]
	v_fma_f64 v[42:43], v[84:85], v[42:43], -v[72:73]
	v_fma_f64 v[46:47], v[88:89], v[46:47], -v[74:75]
	;; [unrolled: 4-line block ×3, first 2 shown]
	ds_read_b128 v[32:35], v217
	ds_read_b128 v[36:39], v217 offset:2816
	s_waitcnt lgkmcnt(0)
	s_barrier
	buffer_gl0_inv
	v_add_f64 v[68:69], v[60:61], v[62:63]
	v_add_f64 v[70:71], v[64:65], v[66:67]
	v_add_f64 v[82:83], v[64:65], -v[66:67]
	v_add_f64 v[72:73], v[40:41], v[44:45]
	v_add_f64 v[94:95], v[40:41], -v[44:45]
	v_add_f64 v[74:75], v[42:43], v[46:47]
	v_add_f64 v[88:89], v[56:57], v[48:49]
	;; [unrolled: 1-line block ×8, first 2 shown]
	v_add_f64 v[60:61], v[60:61], -v[62:63]
	v_add_f64 v[90:91], v[58:59], v[50:51]
	v_add_f64 v[92:93], v[42:43], -v[46:47]
	v_add_f64 v[96:97], v[50:51], -v[54:55]
	;; [unrolled: 1-line block ×3, first 2 shown]
	v_fma_f64 v[68:69], v[68:69], -0.5, v[32:33]
	v_fma_f64 v[70:71], v[70:71], -0.5, v[34:35]
	;; [unrolled: 1-line block ×4, first 2 shown]
	v_add_f64 v[40:41], v[88:89], v[52:53]
	v_fma_f64 v[76:77], v[76:77], -0.5, v[56:57]
	v_add_f64 v[32:33], v[80:81], v[62:63]
	v_fma_f64 v[78:79], v[78:79], -0.5, v[58:59]
	v_add_f64 v[34:35], v[64:65], v[66:67]
	v_add_f64 v[36:37], v[84:85], v[44:45]
	;; [unrolled: 1-line block ×4, first 2 shown]
	v_fma_f64 v[44:45], v[82:83], s[0:1], v[68:69]
	v_fma_f64 v[48:49], v[82:83], s[4:5], v[68:69]
	v_fma_f64 v[46:47], v[60:61], s[4:5], v[70:71]
	v_fma_f64 v[50:51], v[60:61], s[0:1], v[70:71]
	v_fma_f64 v[52:53], v[92:93], s[0:1], v[72:73]
	v_fma_f64 v[56:57], v[92:93], s[4:5], v[72:73]
	v_fma_f64 v[54:55], v[94:95], s[4:5], v[74:75]
	v_fma_f64 v[58:59], v[94:95], s[0:1], v[74:75]
	v_fma_f64 v[60:61], v[96:97], s[0:1], v[76:77]
	v_fma_f64 v[64:65], v[96:97], s[4:5], v[76:77]
	v_fma_f64 v[62:63], v[98:99], s[4:5], v[78:79]
	v_fma_f64 v[66:67], v[98:99], s[0:1], v[78:79]
	ds_write_b128 v217, v[32:35]
	ds_write_b128 v217, v[36:39] offset:8448
	ds_write_b128 v217, v[44:47] offset:2816
	;; [unrolled: 1-line block ×8, first 2 shown]
	s_waitcnt lgkmcnt(0)
	s_barrier
	buffer_gl0_inv
	ds_read_b128 v[32:35], v217 offset:8448
	ds_read_b128 v[36:39], v217 offset:16896
	;; [unrolled: 1-line block ×7, first 2 shown]
	s_waitcnt lgkmcnt(6)
	v_mul_f64 v[60:61], v[106:107], v[34:35]
	s_waitcnt lgkmcnt(5)
	v_mul_f64 v[62:63], v[110:111], v[38:39]
	v_mul_f64 v[64:65], v[106:107], v[32:33]
	;; [unrolled: 1-line block ×3, first 2 shown]
	s_waitcnt lgkmcnt(2)
	v_mul_f64 v[80:81], v[118:119], v[48:49]
	v_mul_f64 v[76:77], v[118:119], v[50:51]
	;; [unrolled: 1-line block ×6, first 2 shown]
	s_waitcnt lgkmcnt(1)
	v_mul_f64 v[78:79], v[122:123], v[54:55]
	v_mul_f64 v[82:83], v[122:123], v[52:53]
	v_fma_f64 v[60:61], v[104:105], v[32:33], v[60:61]
	v_fma_f64 v[62:63], v[108:109], v[36:37], v[62:63]
	v_fma_f64 v[64:65], v[104:105], v[34:35], -v[64:65]
	v_fma_f64 v[66:67], v[108:109], v[38:39], -v[66:67]
	;; [unrolled: 1-line block ×3, first 2 shown]
	ds_read_b128 v[32:35], v217
	ds_read_b128 v[36:39], v217 offset:2816
	s_clause 0x1
	buffer_load_dword v80, off, s[44:47], 0
	buffer_load_dword v81, off, s[44:47], 0 offset:4
	v_fma_f64 v[40:41], v[100:101], v[40:41], v[68:69]
	v_fma_f64 v[44:45], v[112:113], v[44:45], v[70:71]
	v_fma_f64 v[42:43], v[100:101], v[42:43], -v[72:73]
	v_fma_f64 v[46:47], v[112:113], v[46:47], -v[74:75]
	v_fma_f64 v[48:49], v[116:117], v[48:49], v[76:77]
	v_fma_f64 v[52:53], v[120:121], v[52:53], v[78:79]
	v_fma_f64 v[54:55], v[120:121], v[54:55], -v[82:83]
	v_mad_u64_u32 v[82:83], null, s8, v220, 0
	v_add_f64 v[68:69], v[60:61], v[62:63]
	s_waitcnt lgkmcnt(1)
	v_add_f64 v[84:85], v[32:33], v[60:61]
	v_add_f64 v[70:71], v[64:65], v[66:67]
	v_add_f64 v[86:87], v[64:65], -v[66:67]
	v_add_f64 v[64:65], v[34:35], v[64:65]
	v_add_f64 v[94:95], v[58:59], v[50:51]
	s_waitcnt lgkmcnt(0)
	v_add_f64 v[88:89], v[36:37], v[40:41]
	v_add_f64 v[72:73], v[40:41], v[44:45]
	;; [unrolled: 1-line block ×7, first 2 shown]
	v_add_f64 v[60:61], v[60:61], -v[62:63]
	v_add_f64 v[96:97], v[42:43], -v[46:47]
	;; [unrolled: 1-line block ×5, first 2 shown]
	v_fma_f64 v[68:69], v[68:69], -0.5, v[32:33]
	v_add_f64 v[32:33], v[84:85], v[62:63]
	v_fma_f64 v[70:71], v[70:71], -0.5, v[34:35]
	v_add_f64 v[34:35], v[64:65], v[66:67]
	v_add_f64 v[42:43], v[94:95], v[54:55]
	v_fma_f64 v[72:73], v[72:73], -0.5, v[36:37]
	v_add_f64 v[36:37], v[88:89], v[44:45]
	v_fma_f64 v[74:75], v[74:75], -0.5, v[38:39]
	;; [unrolled: 2-line block ×3, first 2 shown]
	v_fma_f64 v[78:79], v[78:79], -0.5, v[58:59]
	v_add_f64 v[40:41], v[92:93], v[52:53]
	v_fma_f64 v[44:45], v[86:87], s[0:1], v[68:69]
	v_fma_f64 v[48:49], v[86:87], s[4:5], v[68:69]
	;; [unrolled: 1-line block ×12, first 2 shown]
	ds_write_b128 v217, v[32:35]
	ds_write_b128 v217, v[36:39] offset:2816
	ds_write_b128 v217, v[40:43] offset:5632
	;; [unrolled: 1-line block ×8, first 2 shown]
	s_mul_i32 s0, s9, 0x18c
	s_mul_hi_u32 s1, s8, 0x18c
	s_waitcnt vmcnt(0) lgkmcnt(0)
	s_add_i32 s5, s1, s0
	s_barrier
	buffer_gl0_inv
	ds_read_b128 v[32:35], v217
	ds_read_b128 v[36:39], v217 offset:6336
	ds_read_b128 v[40:43], v217 offset:12672
	;; [unrolled: 1-line block ×6, first 2 shown]
	s_mul_i32 s4, s8, 0x18c
	s_lshl_b64 s[4:5], s[4:5], 4
	s_waitcnt lgkmcnt(3)
	v_mul_f64 v[72:73], v[14:15], v[46:47]
	v_mul_f64 v[14:15], v[14:15], v[44:45]
	s_waitcnt lgkmcnt(2)
	v_mul_f64 v[74:75], v[18:19], v[50:51]
	v_mul_f64 v[18:19], v[18:19], v[48:49]
	;; [unrolled: 3-line block ×3, first 2 shown]
	v_mov_b32_e32 v104, v80
	v_mad_u64_u32 v[80:81], null, s10, v104, 0
	s_mul_i32 s10, s8, 0xfffffc0c
	v_mad_u64_u32 v[68:69], null, s11, v104, v[81:82]
	v_mad_u64_u32 v[69:70], null, s9, v220, v[83:84]
	v_mul_f64 v[70:71], v[22:23], v[42:43]
	v_mul_f64 v[22:23], v[22:23], v[40:41]
	s_mul_hi_u32 s11, s8, 0xfffffc0c
	s_mulk_i32 s9, 0xfc0c
	v_mov_b32_e32 v81, v68
	s_sub_i32 s1, s11, s8
	v_mov_b32_e32 v83, v69
	s_add_i32 s11, s1, s9
	v_lshlrev_b64 v[60:61], 4, v[80:81]
	v_lshlrev_b64 v[64:65], 4, v[82:83]
	v_add_co_u32 v66, s0, s6, v60
	v_add_co_ci_u32_e64 v67, s0, s7, v61, s0
	ds_read_b128 v[60:63], v217 offset:21824
	s_clause 0xb
	buffer_load_dword v0, off, s[44:47], 0 offset:8
	buffer_load_dword v1, off, s[44:47], 0 offset:12
	;; [unrolled: 1-line block ×12, first 2 shown]
	v_add_co_u32 v64, s0, v66, v64
	v_add_co_ci_u32_e64 v65, s0, v67, v65, s0
	s_lshl_b64 s[6:7], s[10:11], 4
	v_add_co_u32 v82, s0, v64, s4
	v_add_co_ci_u32_e64 v83, s0, s5, v65, s0
	v_add_co_u32 v84, s0, v82, s4
	v_add_co_ci_u32_e64 v85, s0, s5, v83, s0
	s_waitcnt lgkmcnt(0)
	v_mul_f64 v[80:81], v[30:31], v[62:63]
	v_mul_f64 v[30:31], v[30:31], v[60:61]
	s_waitcnt vmcnt(8)
	v_mul_f64 v[66:67], v[2:3], v[34:35]
	v_mul_f64 v[2:3], v[2:3], v[32:33]
	s_waitcnt vmcnt(4)
	v_mul_f64 v[68:69], v[10:11], v[38:39]
	v_mul_f64 v[10:11], v[10:11], v[36:37]
	s_waitcnt vmcnt(0)
	v_mul_f64 v[76:77], v[6:7], v[54:55]
	v_mul_f64 v[6:7], v[6:7], v[52:53]
	v_fma_f64 v[32:33], v[0:1], v[32:33], v[66:67]
	v_fma_f64 v[0:1], v[0:1], v[34:35], -v[2:3]
	v_fma_f64 v[34:35], v[8:9], v[36:37], v[68:69]
	v_fma_f64 v[8:9], v[8:9], v[38:39], -v[10:11]
	;; [unrolled: 2-line block ×8, first 2 shown]
	v_add_co_u32 v54, s0, v84, s4
	v_add_co_ci_u32_e64 v55, s0, s5, v85, s0
	v_add_co_u32 v56, s0, v54, s6
	v_mul_f64 v[2:3], v[32:33], s[2:3]
	v_mul_f64 v[4:5], v[0:1], s[2:3]
	;; [unrolled: 1-line block ×4, first 2 shown]
	v_add_co_ci_u32_e64 v57, s0, s7, v55, s0
	v_mul_f64 v[10:11], v[10:11], s[2:3]
	v_mul_f64 v[12:13], v[20:21], s[2:3]
	;; [unrolled: 1-line block ×8, first 2 shown]
	v_add_co_u32 v34, s0, v56, s4
	v_mul_f64 v[26:27], v[46:47], s[2:3]
	v_mul_f64 v[28:29], v[48:49], s[2:3]
	;; [unrolled: 1-line block ×4, first 2 shown]
	v_add_co_ci_u32_e64 v35, s0, s5, v57, s0
	v_add_co_u32 v36, s0, v34, s4
	v_add_co_ci_u32_e64 v37, s0, s5, v35, s0
	v_add_co_u32 v0, s0, v36, s4
	v_add_co_ci_u32_e64 v1, s0, s5, v37, s0
	global_store_dwordx4 v[64:65], v[2:5], off
	global_store_dwordx4 v[82:83], v[6:9], off
	;; [unrolled: 1-line block ×8, first 2 shown]
	s_and_b32 exec_lo, exec_lo, vcc_lo
	s_cbranch_execz .LBB0_39
; %bb.38:
	v_add_co_u32 v2, vcc_lo, 0x1000, v218
	v_add_co_ci_u32_e32 v3, vcc_lo, 0, v219, vcc_lo
	v_add_co_u32 v6, vcc_lo, 0x2800, v218
	v_add_co_ci_u32_e32 v7, vcc_lo, 0, v219, vcc_lo
	;; [unrolled: 2-line block ×3, first 2 shown]
	s_clause 0x3
	global_load_dwordx4 v[2:5], v[2:3], off offset:1536
	global_load_dwordx4 v[6:9], v[6:7], off offset:1728
	;; [unrolled: 1-line block ×4, first 2 shown]
	ds_read_b128 v[18:21], v217 offset:5632
	ds_read_b128 v[22:25], v217 offset:11968
	;; [unrolled: 1-line block ×4, first 2 shown]
	v_add_co_u32 v0, vcc_lo, v0, s6
	v_add_co_ci_u32_e32 v1, vcc_lo, s7, v1, vcc_lo
	s_waitcnt vmcnt(3) lgkmcnt(3)
	v_mul_f64 v[34:35], v[20:21], v[4:5]
	v_mul_f64 v[4:5], v[18:19], v[4:5]
	s_waitcnt vmcnt(2) lgkmcnt(2)
	v_mul_f64 v[36:37], v[24:25], v[8:9]
	v_mul_f64 v[8:9], v[22:23], v[8:9]
	;; [unrolled: 3-line block ×4, first 2 shown]
	v_fma_f64 v[18:19], v[18:19], v[2:3], v[34:35]
	v_fma_f64 v[4:5], v[2:3], v[20:21], -v[4:5]
	v_fma_f64 v[20:21], v[22:23], v[6:7], v[36:37]
	v_fma_f64 v[8:9], v[6:7], v[24:25], -v[8:9]
	;; [unrolled: 2-line block ×4, first 2 shown]
	v_mul_f64 v[2:3], v[18:19], s[2:3]
	v_mul_f64 v[4:5], v[4:5], s[2:3]
	;; [unrolled: 1-line block ×8, first 2 shown]
	v_add_co_u32 v18, vcc_lo, v0, s4
	v_add_co_ci_u32_e32 v19, vcc_lo, s5, v1, vcc_lo
	v_add_co_u32 v20, vcc_lo, v18, s4
	v_add_co_ci_u32_e32 v21, vcc_lo, s5, v19, vcc_lo
	;; [unrolled: 2-line block ×3, first 2 shown]
	global_store_dwordx4 v[0:1], v[2:5], off
	global_store_dwordx4 v[18:19], v[6:9], off
	;; [unrolled: 1-line block ×4, first 2 shown]
.LBB0_39:
	s_endpgm
	.section	.rodata,"a",@progbits
	.p2align	6, 0x0
	.amdhsa_kernel bluestein_single_fwd_len1584_dim1_dp_op_CI_CI
		.amdhsa_group_segment_fixed_size 25344
		.amdhsa_private_segment_fixed_size 60
		.amdhsa_kernarg_size 104
		.amdhsa_user_sgpr_count 6
		.amdhsa_user_sgpr_private_segment_buffer 1
		.amdhsa_user_sgpr_dispatch_ptr 0
		.amdhsa_user_sgpr_queue_ptr 0
		.amdhsa_user_sgpr_kernarg_segment_ptr 1
		.amdhsa_user_sgpr_dispatch_id 0
		.amdhsa_user_sgpr_flat_scratch_init 0
		.amdhsa_user_sgpr_private_segment_size 0
		.amdhsa_wavefront_size32 1
		.amdhsa_uses_dynamic_stack 0
		.amdhsa_system_sgpr_private_segment_wavefront_offset 1
		.amdhsa_system_sgpr_workgroup_id_x 1
		.amdhsa_system_sgpr_workgroup_id_y 0
		.amdhsa_system_sgpr_workgroup_id_z 0
		.amdhsa_system_sgpr_workgroup_info 0
		.amdhsa_system_vgpr_workitem_id 0
		.amdhsa_next_free_vgpr 256
		.amdhsa_next_free_sgpr 48
		.amdhsa_reserve_vcc 1
		.amdhsa_reserve_flat_scratch 0
		.amdhsa_float_round_mode_32 0
		.amdhsa_float_round_mode_16_64 0
		.amdhsa_float_denorm_mode_32 3
		.amdhsa_float_denorm_mode_16_64 3
		.amdhsa_dx10_clamp 1
		.amdhsa_ieee_mode 1
		.amdhsa_fp16_overflow 0
		.amdhsa_workgroup_processor_mode 1
		.amdhsa_memory_ordered 1
		.amdhsa_forward_progress 0
		.amdhsa_shared_vgpr_count 0
		.amdhsa_exception_fp_ieee_invalid_op 0
		.amdhsa_exception_fp_denorm_src 0
		.amdhsa_exception_fp_ieee_div_zero 0
		.amdhsa_exception_fp_ieee_overflow 0
		.amdhsa_exception_fp_ieee_underflow 0
		.amdhsa_exception_fp_ieee_inexact 0
		.amdhsa_exception_int_div_zero 0
	.end_amdhsa_kernel
	.text
.Lfunc_end0:
	.size	bluestein_single_fwd_len1584_dim1_dp_op_CI_CI, .Lfunc_end0-bluestein_single_fwd_len1584_dim1_dp_op_CI_CI
                                        ; -- End function
	.section	.AMDGPU.csdata,"",@progbits
; Kernel info:
; codeLenInByte = 17676
; NumSgprs: 50
; NumVgprs: 256
; ScratchSize: 60
; MemoryBound: 0
; FloatMode: 240
; IeeeMode: 1
; LDSByteSize: 25344 bytes/workgroup (compile time only)
; SGPRBlocks: 6
; VGPRBlocks: 31
; NumSGPRsForWavesPerEU: 50
; NumVGPRsForWavesPerEU: 256
; Occupancy: 4
; WaveLimiterHint : 1
; COMPUTE_PGM_RSRC2:SCRATCH_EN: 1
; COMPUTE_PGM_RSRC2:USER_SGPR: 6
; COMPUTE_PGM_RSRC2:TRAP_HANDLER: 0
; COMPUTE_PGM_RSRC2:TGID_X_EN: 1
; COMPUTE_PGM_RSRC2:TGID_Y_EN: 0
; COMPUTE_PGM_RSRC2:TGID_Z_EN: 0
; COMPUTE_PGM_RSRC2:TIDIG_COMP_CNT: 0
	.text
	.p2alignl 6, 3214868480
	.fill 48, 4, 3214868480
	.type	__hip_cuid_d994a22eb4f21880,@object ; @__hip_cuid_d994a22eb4f21880
	.section	.bss,"aw",@nobits
	.globl	__hip_cuid_d994a22eb4f21880
__hip_cuid_d994a22eb4f21880:
	.byte	0                               ; 0x0
	.size	__hip_cuid_d994a22eb4f21880, 1

	.ident	"AMD clang version 19.0.0git (https://github.com/RadeonOpenCompute/llvm-project roc-6.4.0 25133 c7fe45cf4b819c5991fe208aaa96edf142730f1d)"
	.section	".note.GNU-stack","",@progbits
	.addrsig
	.addrsig_sym __hip_cuid_d994a22eb4f21880
	.amdgpu_metadata
---
amdhsa.kernels:
  - .args:
      - .actual_access:  read_only
        .address_space:  global
        .offset:         0
        .size:           8
        .value_kind:     global_buffer
      - .actual_access:  read_only
        .address_space:  global
        .offset:         8
        .size:           8
        .value_kind:     global_buffer
      - .actual_access:  read_only
        .address_space:  global
        .offset:         16
        .size:           8
        .value_kind:     global_buffer
      - .actual_access:  read_only
        .address_space:  global
        .offset:         24
        .size:           8
        .value_kind:     global_buffer
      - .actual_access:  read_only
        .address_space:  global
        .offset:         32
        .size:           8
        .value_kind:     global_buffer
      - .offset:         40
        .size:           8
        .value_kind:     by_value
      - .address_space:  global
        .offset:         48
        .size:           8
        .value_kind:     global_buffer
      - .address_space:  global
        .offset:         56
        .size:           8
        .value_kind:     global_buffer
      - .address_space:  global
        .offset:         64
        .size:           8
        .value_kind:     global_buffer
      - .address_space:  global
        .offset:         72
        .size:           8
        .value_kind:     global_buffer
      - .offset:         80
        .size:           4
        .value_kind:     by_value
      - .address_space:  global
        .offset:         88
        .size:           8
        .value_kind:     global_buffer
      - .address_space:  global
        .offset:         96
        .size:           8
        .value_kind:     global_buffer
    .group_segment_fixed_size: 25344
    .kernarg_segment_align: 8
    .kernarg_segment_size: 104
    .language:       OpenCL C
    .language_version:
      - 2
      - 0
    .max_flat_workgroup_size: 176
    .name:           bluestein_single_fwd_len1584_dim1_dp_op_CI_CI
    .private_segment_fixed_size: 60
    .sgpr_count:     50
    .sgpr_spill_count: 0
    .symbol:         bluestein_single_fwd_len1584_dim1_dp_op_CI_CI.kd
    .uniform_work_group_size: 1
    .uses_dynamic_stack: false
    .vgpr_count:     256
    .vgpr_spill_count: 14
    .wavefront_size: 32
    .workgroup_processor_mode: 1
amdhsa.target:   amdgcn-amd-amdhsa--gfx1030
amdhsa.version:
  - 1
  - 2
...

	.end_amdgpu_metadata
